;; amdgpu-corpus repo=ROCm/rocFFT kind=compiled arch=gfx1100 opt=O3
	.text
	.amdgcn_target "amdgcn-amd-amdhsa--gfx1100"
	.amdhsa_code_object_version 6
	.protected	bluestein_single_back_len272_dim1_dp_op_CI_CI ; -- Begin function bluestein_single_back_len272_dim1_dp_op_CI_CI
	.globl	bluestein_single_back_len272_dim1_dp_op_CI_CI
	.p2align	8
	.type	bluestein_single_back_len272_dim1_dp_op_CI_CI,@function
bluestein_single_back_len272_dim1_dp_op_CI_CI: ; @bluestein_single_back_len272_dim1_dp_op_CI_CI
; %bb.0:
	s_load_b128 s[16:19], s[0:1], 0x28
	v_mul_u32_u24_e32 v1, 0xf10, v0
	s_mov_b32 s2, exec_lo
	s_delay_alu instid0(VALU_DEP_1) | instskip(NEXT) | instid1(VALU_DEP_1)
	v_lshrrev_b32_e32 v1, 16, v1
	v_mad_u64_u32 v[247:248], null, s15, 7, v[1:2]
	v_mov_b32_e32 v248, 0
	s_waitcnt lgkmcnt(0)
	s_delay_alu instid0(VALU_DEP_1)
	v_cmpx_gt_u64_e64 s[16:17], v[247:248]
	s_cbranch_execz .LBB0_10
; %bb.1:
	s_clause 0x1
	s_load_b128 s[4:7], s[0:1], 0x18
	s_load_b128 s[8:11], s[0:1], 0x0
	v_mul_lo_u16 v1, v1, 17
	s_mov_b32 s16, 0xa6aea964
	s_mov_b32 s17, 0xbfd87de2
	;; [unrolled: 1-line block ×3, first 2 shown]
	s_delay_alu instid0(VALU_DEP_1) | instskip(NEXT) | instid1(VALU_DEP_1)
	v_sub_nc_u16 v0, v0, v1
	v_and_b32_e32 v243, 0xffff, v0
	s_waitcnt lgkmcnt(0)
	s_load_b128 s[12:15], s[4:5], 0x0
	s_waitcnt lgkmcnt(0)
	v_mad_u64_u32 v[1:2], null, s14, v247, 0
	v_mad_u64_u32 v[3:4], null, s12, v243, 0
	s_mul_i32 s3, s13, 0x110
	s_mul_hi_u32 s4, s12, 0x110
	s_mul_i32 s2, s12, 0x110
	s_add_i32 s3, s4, s3
	s_delay_alu instid0(VALU_DEP_1) | instskip(SKIP_3) | instid1(VALU_DEP_1)
	v_mad_u64_u32 v[5:6], null, s15, v247, v[2:3]
	s_mov_b32 s14, 0xcf328d46
	s_mov_b32 s15, 0xbfed906b
	;; [unrolled: 1-line block ×3, first 2 shown]
	v_mov_b32_e32 v2, v5
	v_mad_u64_u32 v[6:7], null, s13, v243, v[4:5]
	v_lshlrev_b32_e32 v11, 4, v243
	s_mov_b32 s13, 0x3fe6a09e
	s_delay_alu instid0(VALU_DEP_3) | instskip(NEXT) | instid1(VALU_DEP_3)
	v_lshlrev_b64 v[1:2], 4, v[1:2]
	v_mov_b32_e32 v4, v6
	s_clause 0x1
	global_load_b128 v[17:20], v11, s[8:9]
	global_load_b128 v[21:24], v11, s[8:9] offset:272
	v_add_co_u32 v1, vcc_lo, s18, v1
	v_add_co_ci_u32_e32 v2, vcc_lo, s19, v2, vcc_lo
	v_lshlrev_b64 v[3:4], 4, v[3:4]
	s_clause 0xb
	global_load_b128 v[25:28], v11, s[8:9] offset:544
	global_load_b128 v[33:36], v11, s[8:9] offset:816
	;; [unrolled: 1-line block ×12, first 2 shown]
	v_add_co_u32 v1, vcc_lo, v1, v3
	v_add_co_ci_u32_e32 v2, vcc_lo, v2, v4, vcc_lo
	s_mov_b32 s19, 0x3fd87de2
	s_delay_alu instid0(VALU_DEP_2) | instskip(NEXT) | instid1(VALU_DEP_2)
	v_add_co_u32 v5, vcc_lo, v1, s2
	v_add_co_ci_u32_e32 v6, vcc_lo, s3, v2, vcc_lo
	global_load_b128 v[1:4], v[1:2], off
	v_add_co_u32 v9, vcc_lo, v5, s2
	v_add_co_ci_u32_e32 v10, vcc_lo, s3, v6, vcc_lo
	s_clause 0x1
	global_load_b128 v[5:8], v[5:6], off
	global_load_b128 v[12:15], v[9:10], off
	v_add_co_u32 v56, vcc_lo, v9, s2
	v_add_co_ci_u32_e32 v57, vcc_lo, s3, v10, vcc_lo
	s_mov_b32 s18, s16
	s_delay_alu instid0(VALU_DEP_2) | instskip(NEXT) | instid1(VALU_DEP_2)
	v_add_co_u32 v58, vcc_lo, v56, s2
	v_add_co_ci_u32_e32 v59, vcc_lo, s3, v57, vcc_lo
	s_clause 0x1
	global_load_b128 v[64:67], v[56:57], off
	global_load_b128 v[68:71], v[58:59], off
	v_add_co_u32 v60, vcc_lo, v58, s2
	v_add_co_ci_u32_e32 v61, vcc_lo, s3, v59, vcc_lo
	s_delay_alu instid0(VALU_DEP_2) | instskip(NEXT) | instid1(VALU_DEP_2)
	v_add_co_u32 v9, vcc_lo, v60, s2
	v_add_co_ci_u32_e32 v10, vcc_lo, s3, v61, vcc_lo
	global_load_b128 v[72:75], v[60:61], off
	v_add_co_u32 v56, vcc_lo, v9, s2
	v_add_co_ci_u32_e32 v57, vcc_lo, s3, v10, vcc_lo
	global_load_b128 v[76:79], v[9:10], off
	;; [unrolled: 3-line block ×8, first 2 shown]
	v_add_co_u32 v58, vcc_lo, v56, s2
	v_add_co_ci_u32_e32 v59, vcc_lo, s3, v57, vcc_lo
	s_delay_alu instid0(VALU_DEP_2) | instskip(NEXT) | instid1(VALU_DEP_2)
	v_add_co_u32 v9, vcc_lo, v58, s2
	v_add_co_ci_u32_e32 v10, vcc_lo, s3, v59, vcc_lo
	global_load_b128 v[104:107], v[56:57], off
	global_load_b128 v[108:111], v[58:59], off
	s_clause 0x1
	global_load_b128 v[53:56], v11, s[8:9] offset:3808
	global_load_b128 v[57:60], v11, s[8:9] offset:4080
	global_load_b128 v[112:115], v[9:10], off
	v_mul_hi_u32 v9, 0x24924925, v247
	s_load_b128 s[4:7], s[6:7], 0x0
	s_mov_b32 s2, 0x667f3bcd
	s_mov_b32 s3, 0xbfe6a09e
	;; [unrolled: 1-line block ×3, first 2 shown]
	v_cmp_gt_u16_e32 vcc_lo, 16, v0
	s_delay_alu instid0(VALU_DEP_2) | instskip(NEXT) | instid1(VALU_DEP_1)
	v_sub_nc_u32_e32 v10, v247, v9
	v_lshrrev_b32_e32 v10, 1, v10
	s_delay_alu instid0(VALU_DEP_1) | instskip(NEXT) | instid1(VALU_DEP_1)
	v_add_nc_u32_e32 v16, v10, v9
	v_lshrrev_b32_e32 v16, 2, v16
	s_delay_alu instid0(VALU_DEP_1)
	v_mul_lo_u32 v16, v16, 7
	s_waitcnt vmcnt(31)
	scratch_store_b128 off, v[17:20], off   ; 16-byte Folded Spill
	s_waitcnt vmcnt(30)
	scratch_store_b128 off, v[21:24], off offset:16 ; 16-byte Folded Spill
	s_waitcnt vmcnt(29)
	scratch_store_b128 off, v[25:28], off offset:32 ; 16-byte Folded Spill
	;; [unrolled: 2-line block ×5, first 2 shown]
	s_waitcnt vmcnt(24)
	s_clause 0x1
	scratch_store_b128 off, v[45:48], off offset:112
	scratch_store_b128 off, v[37:40], off offset:80
	s_waitcnt vmcnt(23)
	scratch_store_b128 off, v[49:52], off offset:128 ; 16-byte Folded Spill
	s_waitcnt vmcnt(22)
	scratch_store_b128 off, v[180:183], off offset:144 ; 16-byte Folded Spill
	;; [unrolled: 2-line block ×6, first 2 shown]
	s_waitcnt vmcnt(17)
	v_mul_f64 v[9:10], v[3:4], v[19:20]
	v_mul_f64 v[118:119], v[1:2], v[19:20]
	s_waitcnt vmcnt(16)
	v_mul_f64 v[120:121], v[7:8], v[23:24]
	v_mul_f64 v[122:123], v[5:6], v[23:24]
	;; [unrolled: 3-line block ×7, first 2 shown]
	v_fma_f64 v[116:117], v[1:2], v[17:18], v[9:10]
	s_waitcnt vmcnt(10)
	v_mul_f64 v[144:145], v[82:83], v[47:48]
	v_mul_f64 v[146:147], v[80:81], v[47:48]
	v_fma_f64 v[118:119], v[3:4], v[17:18], -v[118:119]
	v_sub_nc_u32_e32 v1, v247, v16
	s_waitcnt vmcnt(9)
	v_mul_f64 v[148:149], v[86:87], v[51:52]
	v_mul_f64 v[150:151], v[84:85], v[51:52]
	v_fma_f64 v[2:3], v[5:6], v[21:22], v[120:121]
	v_fma_f64 v[4:5], v[7:8], v[21:22], -v[122:123]
	v_fma_f64 v[6:7], v[12:13], v[25:26], v[124:125]
	s_waitcnt vmcnt(8)
	v_mul_f64 v[152:153], v[90:91], v[182:183]
	v_mul_f64 v[154:155], v[88:89], v[182:183]
	v_fma_f64 v[8:9], v[14:15], v[25:26], -v[126:127]
	v_mul_u32_u24_e32 v1, 0x110, v1
	s_waitcnt vmcnt(7)
	v_mul_f64 v[156:157], v[94:95], v[186:187]
	v_mul_f64 v[158:159], v[92:93], v[186:187]
	v_fma_f64 v[12:13], v[64:65], v[33:34], v[128:129]
	v_fma_f64 v[14:15], v[66:67], v[33:34], -v[130:131]
	v_fma_f64 v[64:65], v[68:69], v[41:42], v[132:133]
	s_waitcnt vmcnt(6)
	v_mul_f64 v[160:161], v[98:99], v[190:191]
	v_mul_f64 v[162:163], v[96:97], v[190:191]
	v_fma_f64 v[66:67], v[70:71], v[41:42], -v[134:135]
	v_lshlrev_b32_e32 v248, 4, v1
	v_or_b32_e32 v1, v1, v243
	s_waitcnt vmcnt(5)
	v_mul_f64 v[164:165], v[102:103], v[194:195]
	v_mul_f64 v[166:167], v[100:101], v[194:195]
	v_fma_f64 v[68:69], v[72:73], v[29:30], v[136:137]
	v_fma_f64 v[70:71], v[74:75], v[29:30], -v[138:139]
	v_add_nc_u32_e32 v255, v11, v248
	s_waitcnt vmcnt(4)
	v_mul_f64 v[168:169], v[106:107], v[198:199]
	v_mul_f64 v[170:171], v[104:105], v[198:199]
	s_waitcnt vmcnt(2)
	v_mul_f64 v[172:173], v[110:111], v[55:56]
	v_mul_f64 v[174:175], v[108:109], v[55:56]
	;; [unrolled: 3-line block ×3, first 2 shown]
	v_fma_f64 v[72:73], v[76:77], v[37:38], v[140:141]
	v_fma_f64 v[74:75], v[78:79], v[37:38], -v[142:143]
	v_fma_f64 v[76:77], v[80:81], v[45:46], v[144:145]
	v_fma_f64 v[78:79], v[82:83], v[45:46], -v[146:147]
	s_clause 0x1
	scratch_store_b128 off, v[53:56], off offset:224
	scratch_store_b128 off, v[57:60], off offset:240
	v_fma_f64 v[80:81], v[84:85], v[49:50], v[148:149]
	v_fma_f64 v[82:83], v[86:87], v[49:50], -v[150:151]
	v_lshl_add_u32 v10, v243, 8, v248
	v_fma_f64 v[84:85], v[88:89], v[180:181], v[152:153]
	v_fma_f64 v[86:87], v[90:91], v[180:181], -v[154:155]
	v_fma_f64 v[88:89], v[92:93], v[184:185], v[156:157]
	v_fma_f64 v[90:91], v[94:95], v[184:185], -v[158:159]
	;; [unrolled: 2-line block ×7, first 2 shown]
	ds_store_b128 v255, v[116:119]
	ds_store_b128 v255, v[2:5] offset:272
	ds_store_b128 v255, v[6:9] offset:544
	;; [unrolled: 1-line block ×15, first 2 shown]
	s_waitcnt lgkmcnt(0)
	s_waitcnt_vscnt null, 0x0
	s_barrier
	buffer_gl0_inv
	ds_load_b128 v[2:5], v255 offset:2176
	ds_load_b128 v[6:9], v255
	ds_load_b128 v[12:15], v255 offset:1088
	ds_load_b128 v[64:67], v255 offset:3264
	;; [unrolled: 1-line block ×14, first 2 shown]
	s_waitcnt lgkmcnt(0)
	s_barrier
	buffer_gl0_inv
	v_add_f64 v[2:3], v[6:7], -v[2:3]
	v_add_f64 v[4:5], v[8:9], -v[4:5]
	;; [unrolled: 1-line block ×16, first 2 shown]
	v_fma_f64 v[6:7], v[6:7], 2.0, -v[2:3]
	v_fma_f64 v[8:9], v[8:9], 2.0, -v[4:5]
	v_add_f64 v[118:119], v[4:5], v[64:65]
	v_add_f64 v[116:117], v[2:3], -v[66:67]
	v_fma_f64 v[12:13], v[12:13], 2.0, -v[64:65]
	v_fma_f64 v[14:15], v[14:15], 2.0, -v[66:67]
	v_add_f64 v[122:123], v[74:75], v[80:81]
	v_add_f64 v[120:121], v[72:73], -v[82:83]
	;; [unrolled: 4-line block ×3, first 2 shown]
	v_fma_f64 v[68:69], v[76:77], 2.0, -v[80:81]
	v_fma_f64 v[70:71], v[78:79], 2.0, -v[82:83]
	v_add_f64 v[128:129], v[104:105], -v[114:115]
	v_add_f64 v[130:131], v[106:107], v[112:113]
	v_fma_f64 v[76:77], v[84:85], 2.0, -v[88:89]
	v_fma_f64 v[78:79], v[86:87], 2.0, -v[90:91]
	;; [unrolled: 1-line block ×10, first 2 shown]
	v_add_f64 v[12:13], v[6:7], -v[12:13]
	v_add_f64 v[14:15], v[8:9], -v[14:15]
	v_fma_f64 v[74:75], v[74:75], 2.0, -v[122:123]
	v_fma_f64 v[72:73], v[72:73], 2.0, -v[120:121]
	v_fma_f64 v[100:101], v[120:121], s[12:13], v[116:117]
	v_fma_f64 v[102:103], v[122:123], s[12:13], v[118:119]
	v_fma_f64 v[90:91], v[90:91], 2.0, -v[126:127]
	v_fma_f64 v[88:89], v[88:89], 2.0, -v[124:125]
	v_add_f64 v[68:69], v[64:65], -v[68:69]
	v_add_f64 v[70:71], v[66:67], -v[70:71]
	v_fma_f64 v[96:97], v[104:105], 2.0, -v[128:129]
	v_fma_f64 v[98:99], v[106:107], 2.0, -v[130:131]
	v_fma_f64 v[104:105], v[128:129], s[12:13], v[124:125]
	v_fma_f64 v[106:107], v[130:131], s[12:13], v[126:127]
	v_add_f64 v[80:81], v[76:77], -v[80:81]
	v_add_f64 v[82:83], v[78:79], -v[82:83]
	;; [unrolled: 1-line block ×4, first 2 shown]
	v_fma_f64 v[6:7], v[6:7], 2.0, -v[12:13]
	v_fma_f64 v[8:9], v[8:9], 2.0, -v[14:15]
	v_fma_f64 v[110:111], v[74:75], s[2:3], v[4:5]
	v_fma_f64 v[108:109], v[72:73], s[2:3], v[2:3]
	;; [unrolled: 1-line block ×4, first 2 shown]
	v_fma_f64 v[64:65], v[64:65], 2.0, -v[68:69]
	v_fma_f64 v[66:67], v[66:67], 2.0, -v[70:71]
	v_fma_f64 v[112:113], v[96:97], s[2:3], v[88:89]
	v_fma_f64 v[114:115], v[98:99], s[2:3], v[90:91]
	v_add_f64 v[70:71], v[12:13], -v[70:71]
	v_add_f64 v[68:69], v[14:15], v[68:69]
	v_fma_f64 v[76:77], v[76:77], 2.0, -v[80:81]
	v_fma_f64 v[78:79], v[78:79], 2.0, -v[82:83]
	v_fma_f64 v[104:105], v[130:131], s[2:3], v[104:105]
	v_fma_f64 v[106:107], v[128:129], s[12:13], v[106:107]
	v_add_f64 v[100:101], v[80:81], -v[92:93]
	v_add_f64 v[102:103], v[82:83], v[94:95]
	v_fma_f64 v[84:85], v[84:85], 2.0, -v[94:95]
	v_fma_f64 v[86:87], v[86:87], 2.0, -v[92:93]
	v_fma_f64 v[94:95], v[72:73], s[12:13], v[110:111]
	v_fma_f64 v[92:93], v[74:75], s[2:3], v[108:109]
	v_add_f64 v[64:65], v[6:7], -v[64:65]
	v_add_f64 v[66:67], v[8:9], -v[66:67]
	v_fma_f64 v[72:73], v[98:99], s[2:3], v[112:113]
	v_fma_f64 v[74:75], v[96:97], s[12:13], v[114:115]
	v_fma_f64 v[12:13], v[12:13], 2.0, -v[70:71]
	v_fma_f64 v[14:15], v[14:15], 2.0, -v[68:69]
	;; [unrolled: 1-line block ×8, first 2 shown]
	v_add_f64 v[84:85], v[76:77], -v[84:85]
	v_add_f64 v[86:87], v[78:79], -v[86:87]
	v_fma_f64 v[112:113], v[100:101], s[12:13], v[70:71]
	v_fma_f64 v[114:115], v[102:103], s[12:13], v[68:69]
	;; [unrolled: 1-line block ×4, first 2 shown]
	v_fma_f64 v[4:5], v[4:5], 2.0, -v[94:95]
	v_fma_f64 v[2:3], v[2:3], 2.0, -v[92:93]
	;; [unrolled: 1-line block ×6, first 2 shown]
	v_fma_f64 v[128:129], v[72:73], s[18:19], v[92:93]
	v_fma_f64 v[130:131], v[74:75], s[18:19], v[94:95]
	;; [unrolled: 1-line block ×6, first 2 shown]
	v_fma_f64 v[76:77], v[76:77], 2.0, -v[84:85]
	v_fma_f64 v[78:79], v[78:79], 2.0, -v[86:87]
	v_fma_f64 v[136:137], v[102:103], s[2:3], v[112:113]
	v_fma_f64 v[138:139], v[100:101], s[12:13], v[114:115]
	;; [unrolled: 1-line block ×4, first 2 shown]
	v_add_f64 v[100:101], v[64:65], -v[86:87]
	v_add_f64 v[102:103], v[66:67], v[84:85]
	v_fma_f64 v[144:145], v[88:89], s[14:15], v[2:3]
	v_fma_f64 v[146:147], v[90:91], s[14:15], v[4:5]
	;; [unrolled: 1-line block ×8, first 2 shown]
	v_add_f64 v[124:125], v[6:7], -v[76:77]
	v_add_f64 v[126:127], v[8:9], -v[78:79]
	v_fma_f64 v[108:109], v[70:71], 2.0, -v[136:137]
	v_fma_f64 v[110:111], v[68:69], 2.0, -v[138:139]
	;; [unrolled: 1-line block ×6, first 2 shown]
	s_load_b64 s[2:3], s[0:1], 0x38
	v_fma_f64 v[128:129], v[90:91], s[16:17], v[144:145]
	v_fma_f64 v[130:131], v[88:89], s[18:19], v[146:147]
                                        ; implicit-def: $vgpr88_vgpr89
	v_fma_f64 v[72:73], v[96:97], 2.0, -v[112:113]
	v_fma_f64 v[74:75], v[98:99], 2.0, -v[114:115]
	;; [unrolled: 1-line block ×8, first 2 shown]
	v_lshlrev_b32_e32 v12, 4, v1
	v_fma_f64 v[76:77], v[2:3], 2.0, -v[128:129]
	v_fma_f64 v[78:79], v[4:5], 2.0, -v[130:131]
	ds_store_b128 v10, v[136:139] offset:224
	ds_store_b128 v10, v[140:143] offset:240
	;; [unrolled: 1-line block ×14, first 2 shown]
	ds_store_b128 v10, v[132:135]
	ds_store_b128 v10, v[76:79] offset:16
	s_waitcnt lgkmcnt(0)
	s_barrier
	buffer_gl0_inv
	s_and_saveexec_b32 s0, vcc_lo
	s_cbranch_execz .LBB0_3
; %bb.2:
	ds_load_b128 v[132:135], v12
	ds_load_b128 v[76:79], v12 offset:256
	ds_load_b128 v[68:71], v12 offset:512
	;; [unrolled: 1-line block ×16, first 2 shown]
.LBB0_3:
	s_or_b32 exec_lo, exec_lo, s0
	v_and_b32_e32 v0, 0xf0, v11
	s_mov_b32 s0, 0x370991
	s_mov_b32 s18, 0x2a9d6da3
	;; [unrolled: 1-line block ×4, first 2 shown]
	v_lshlrev_b32_e32 v21, 4, v0
	s_mov_b32 s16, 0x75d4884
	s_mov_b32 s17, 0x3fe7a5f6
	;; [unrolled: 1-line block ×4, first 2 shown]
	s_clause 0x2
	global_load_b128 v[92:95], v21, s[10:11]
	global_load_b128 v[13:16], v21, s[10:11] offset:16
	global_load_b128 v[104:107], v21, s[10:11] offset:240
	s_mov_b32 s12, 0x2b2883cd
	s_mov_b32 s13, 0x3fdc86fa
	;; [unrolled: 1-line block ×22, first 2 shown]
	global_load_b128 v[22:25], v21, s[10:11] offset:80
	s_waitcnt vmcnt(3) lgkmcnt(15)
	v_mul_f64 v[0:1], v[78:79], v[94:95]
	s_waitcnt vmcnt(2)
	scratch_store_b128 off, v[13:16], off offset:336 ; 16-byte Folded Spill
	s_waitcnt vmcnt(0)
	scratch_store_b128 off, v[22:25], off offset:384 ; 16-byte Folded Spill
	v_fma_f64 v[17:18], v[76:77], v[92:93], -v[0:1]
	v_mul_f64 v[0:1], v[76:77], v[94:95]
	s_delay_alu instid0(VALU_DEP_1) | instskip(SKIP_2) | instid1(VALU_DEP_1)
	v_fma_f64 v[8:9], v[78:79], v[92:93], v[0:1]
	s_waitcnt lgkmcnt(0)
	v_mul_f64 v[0:1], v[88:89], v[106:107]
	v_fma_f64 v[194:195], v[90:91], v[104:105], v[0:1]
	v_mul_f64 v[0:1], v[90:91], v[106:107]
	s_delay_alu instid0(VALU_DEP_2) | instskip(NEXT) | instid1(VALU_DEP_2)
	v_add_f64 v[235:236], v[8:9], -v[194:195]
	v_fma_f64 v[197:198], v[88:89], v[104:105], -v[0:1]
	v_mul_f64 v[0:1], v[70:71], v[15:16]
	v_add_f64 v[245:246], v[8:9], v[194:195]
	s_delay_alu instid0(VALU_DEP_3) | instskip(NEXT) | instid1(VALU_DEP_3)
	v_add_f64 v[233:234], v[17:18], v[197:198]
	v_fma_f64 v[4:5], v[68:69], v[13:14], -v[0:1]
	v_mul_f64 v[0:1], v[68:69], v[15:16]
	v_add_f64 v[241:242], v[17:18], -v[197:198]
	s_delay_alu instid0(VALU_DEP_2)
	v_fma_f64 v[6:7], v[70:71], v[13:14], v[0:1]
	global_load_b128 v[13:16], v21, s[10:11] offset:224
	s_waitcnt vmcnt(0)
	v_mul_f64 v[0:1], v[140:141], v[15:16]
	scratch_store_b128 off, v[13:16], off offset:352 ; 16-byte Folded Spill
	v_fma_f64 v[207:208], v[142:143], v[13:14], v[0:1]
	v_mul_f64 v[0:1], v[142:143], v[15:16]
	s_delay_alu instid0(VALU_DEP_2) | instskip(NEXT) | instid1(VALU_DEP_2)
	v_add_f64 v[88:89], v[6:7], -v[207:208]
	v_fma_f64 v[209:210], v[140:141], v[13:14], -v[0:1]
	global_load_b128 v[13:16], v21, s[10:11] offset:32
	v_add_f64 v[168:169], v[6:7], v[207:208]
	v_mul_f64 v[27:28], v[88:89], s[18:19]
	s_waitcnt vmcnt(0)
	v_mul_f64 v[0:1], v[74:75], v[15:16]
	scratch_store_b128 off, v[13:16], off offset:256 ; 16-byte Folded Spill
	v_fma_f64 v[217:218], v[72:73], v[13:14], -v[0:1]
	v_mul_f64 v[0:1], v[72:73], v[15:16]
	s_delay_alu instid0(VALU_DEP_1)
	v_fma_f64 v[231:232], v[74:75], v[13:14], v[0:1]
	global_load_b128 v[13:16], v21, s[10:11] offset:208
	s_waitcnt vmcnt(0)
	v_mul_f64 v[0:1], v[138:139], v[15:16]
	scratch_store_b128 off, v[13:16], off offset:272 ; 16-byte Folded Spill
	v_fma_f64 v[221:222], v[136:137], v[13:14], -v[0:1]
	v_mul_f64 v[0:1], v[136:137], v[15:16]
	v_add_f64 v[136:137], v[4:5], v[209:210]
	s_delay_alu instid0(VALU_DEP_3) | instskip(NEXT) | instid1(VALU_DEP_3)
	v_add_f64 v[140:141], v[217:218], v[221:222]
	v_fma_f64 v[223:224], v[138:139], v[13:14], v[0:1]
	global_load_b128 v[13:16], v21, s[10:11] offset:48
	v_add_f64 v[138:139], v[4:5], -v[209:210]
	v_add_f64 v[142:143], v[217:218], -v[221:222]
	;; [unrolled: 1-line block ×3, first 2 shown]
	v_add_f64 v[164:165], v[231:232], v[223:224]
	s_delay_alu instid0(VALU_DEP_4) | instskip(NEXT) | instid1(VALU_DEP_4)
	v_mul_f64 v[29:30], v[138:139], s[18:19]
	v_mul_f64 v[33:34], v[142:143], s[14:15]
	s_delay_alu instid0(VALU_DEP_4)
	v_mul_f64 v[31:32], v[90:91], s[14:15]
	s_waitcnt vmcnt(0)
	v_mul_f64 v[0:1], v[82:83], v[15:16]
	scratch_store_b128 off, v[13:16], off offset:288 ; 16-byte Folded Spill
	v_fma_f64 v[215:216], v[80:81], v[13:14], -v[0:1]
	v_mul_f64 v[0:1], v[80:81], v[15:16]
	s_delay_alu instid0(VALU_DEP_1)
	v_fma_f64 v[229:230], v[82:83], v[13:14], v[0:1]
	global_load_b128 v[13:16], v21, s[10:11] offset:192
	s_waitcnt vmcnt(0)
	v_mul_f64 v[0:1], v[86:87], v[15:16]
	scratch_store_b128 off, v[13:16], off offset:304 ; 16-byte Folded Spill
	v_fma_f64 v[237:238], v[84:85], v[13:14], -v[0:1]
	v_mul_f64 v[0:1], v[84:85], v[15:16]
	s_delay_alu instid0(VALU_DEP_2) | instskip(NEXT) | instid1(VALU_DEP_2)
	v_add_f64 v[144:145], v[215:216], v[237:238]
	v_fma_f64 v[239:240], v[86:87], v[13:14], v[0:1]
	global_load_b128 v[13:16], v21, s[10:11] offset:64
	v_add_f64 v[146:147], v[215:216], -v[237:238]
	v_add_f64 v[166:167], v[229:230], v[239:240]
	s_delay_alu instid0(VALU_DEP_2)
	v_mul_f64 v[37:38], v[146:147], s[26:27]
	s_waitcnt vmcnt(0)
	v_mul_f64 v[0:1], v[98:99], v[15:16]
	scratch_store_b128 off, v[13:16], off offset:320 ; 16-byte Folded Spill
	v_fma_f64 v[219:220], v[96:97], v[13:14], -v[0:1]
	v_mul_f64 v[0:1], v[96:97], v[15:16]
	s_delay_alu instid0(VALU_DEP_1) | instskip(SKIP_2) | instid1(VALU_DEP_1)
	v_fma_f64 v[19:20], v[98:99], v[13:14], v[0:1]
	global_load_b128 v[13:16], v21, s[10:11] offset:176
	v_add_f64 v[98:99], v[229:230], -v[239:240]
	v_mul_f64 v[35:36], v[98:99], s[26:27]
	s_waitcnt vmcnt(0)
	v_mul_f64 v[0:1], v[102:103], v[15:16]
	scratch_store_b128 off, v[13:16], off offset:368 ; 16-byte Folded Spill
	v_fma_f64 v[249:250], v[100:101], v[13:14], -v[0:1]
	v_mul_f64 v[0:1], v[100:101], v[15:16]
	s_delay_alu instid0(VALU_DEP_2) | instskip(NEXT) | instid1(VALU_DEP_2)
	v_add_f64 v[148:149], v[219:220], v[249:250]
	v_fma_f64 v[15:16], v[102:103], v[13:14], v[0:1]
	v_mul_f64 v[0:1], v[110:111], v[24:25]
	v_add_f64 v[150:151], v[219:220], -v[249:250]
	s_delay_alu instid0(VALU_DEP_2) | instskip(SKIP_2) | instid1(VALU_DEP_4)
	v_fma_f64 v[227:228], v[108:109], v[22:23], -v[0:1]
	v_mul_f64 v[0:1], v[108:109], v[24:25]
	v_add_f64 v[108:109], v[19:20], -v[15:16]
	v_mul_f64 v[43:44], v[150:151], s[24:25]
	s_delay_alu instid0(VALU_DEP_3)
	v_fma_f64 v[0:1], v[110:111], v[22:23], v[0:1]
	global_load_b128 v[22:25], v21, s[10:11] offset:160
	v_mul_f64 v[39:40], v[108:109], s[24:25]
	s_waitcnt vmcnt(0)
	v_mul_f64 v[2:3], v[114:115], v[24:25]
	scratch_store_b128 off, v[22:25], off offset:400 ; 16-byte Folded Spill
	v_fma_f64 v[253:254], v[112:113], v[22:23], -v[2:3]
	v_mul_f64 v[2:3], v[112:113], v[24:25]
	s_delay_alu instid0(VALU_DEP_2) | instskip(NEXT) | instid1(VALU_DEP_2)
	v_add_f64 v[152:153], v[227:228], v[253:254]
	v_fma_f64 v[192:193], v[114:115], v[22:23], v[2:3]
	global_load_b128 v[22:25], v21, s[10:11] offset:96
	v_add_f64 v[154:155], v[227:228], -v[253:254]
	v_add_f64 v[110:111], v[0:1], -v[192:193]
	v_add_f64 v[184:185], v[0:1], v[192:193]
	s_delay_alu instid0(VALU_DEP_3) | instskip(NEXT) | instid1(VALU_DEP_3)
	v_mul_f64 v[47:48], v[154:155], s[36:37]
	v_mul_f64 v[41:42], v[110:111], s[36:37]
	s_waitcnt vmcnt(0)
	v_mul_f64 v[2:3], v[118:119], v[24:25]
	scratch_store_b128 off, v[22:25], off offset:416 ; 16-byte Folded Spill
	v_fma_f64 v[225:226], v[116:117], v[22:23], -v[2:3]
	v_mul_f64 v[2:3], v[116:117], v[24:25]
	s_delay_alu instid0(VALU_DEP_1) | instskip(SKIP_3) | instid1(VALU_DEP_1)
	v_fma_f64 v[2:3], v[118:119], v[22:23], v[2:3]
	global_load_b128 v[116:119], v21, s[10:11] offset:144
	s_waitcnt vmcnt(0)
	v_mul_f64 v[13:14], v[122:123], v[118:119]
	v_fma_f64 v[199:200], v[120:121], v[116:117], -v[13:14]
	v_mul_f64 v[13:14], v[120:121], v[118:119]
	s_delay_alu instid0(VALU_DEP_2) | instskip(NEXT) | instid1(VALU_DEP_2)
	v_add_f64 v[156:157], v[225:226], v[199:200]
	v_fma_f64 v[201:202], v[122:123], v[116:117], v[13:14]
	global_load_b128 v[120:123], v21, s[10:11] offset:112
	v_add_f64 v[158:159], v[225:226], -v[199:200]
	v_add_f64 v[190:191], v[2:3], -v[201:202]
	v_add_f64 v[188:189], v[2:3], v[201:202]
	s_delay_alu instid0(VALU_DEP_3) | instskip(NEXT) | instid1(VALU_DEP_3)
	v_mul_f64 v[51:52], v[158:159], s[34:35]
	v_mul_f64 v[45:46], v[190:191], s[34:35]
	s_waitcnt vmcnt(0)
	v_mul_f64 v[13:14], v[126:127], v[122:123]
	s_delay_alu instid0(VALU_DEP_1) | instskip(SKIP_1) | instid1(VALU_DEP_1)
	v_fma_f64 v[211:212], v[124:125], v[120:121], -v[13:14]
	v_mul_f64 v[13:14], v[124:125], v[122:123]
	v_fma_f64 v[213:214], v[126:127], v[120:121], v[13:14]
	global_load_b128 v[124:127], v21, s[10:11] offset:128
	s_mov_b32 s10, 0x5d8e7cdc
	s_mov_b32 s11, 0xbfd71e95
	v_add_f64 v[21:22], v[19:20], v[15:16]
	v_mul_f64 v[55:56], v[235:236], s[10:11]
	v_mul_f64 v[57:58], v[241:242], s[10:11]
	s_waitcnt vmcnt(0)
	v_mul_f64 v[13:14], v[130:131], v[126:127]
	s_delay_alu instid0(VALU_DEP_1) | instskip(SKIP_2) | instid1(VALU_DEP_3)
	v_fma_f64 v[203:204], v[128:129], v[124:125], -v[13:14]
	v_mul_f64 v[13:14], v[128:129], v[126:127]
	v_fma_f64 v[128:129], v[136:137], s[16:17], v[27:28]
	v_add_f64 v[160:161], v[211:212], v[203:204]
	s_delay_alu instid0(VALU_DEP_3) | instskip(SKIP_3) | instid1(VALU_DEP_4)
	v_fma_f64 v[205:206], v[130:131], v[124:125], v[13:14]
	v_fma_f64 v[13:14], v[233:234], s[0:1], v[55:56]
	v_fma_f64 v[130:131], v[168:169], s[16:17], -v[29:30]
	v_add_f64 v[162:163], v[211:212], -v[203:204]
	v_add_f64 v[112:113], v[213:214], -v[205:206]
	s_delay_alu instid0(VALU_DEP_4) | instskip(SKIP_1) | instid1(VALU_DEP_4)
	v_add_f64 v[13:14], v[132:133], v[13:14]
	v_add_f64 v[114:115], v[213:214], v[205:206]
	v_mul_f64 v[53:54], v[162:163], s[40:41]
	s_delay_alu instid0(VALU_DEP_4) | instskip(NEXT) | instid1(VALU_DEP_4)
	v_mul_f64 v[49:50], v[112:113], s[40:41]
	v_add_f64 v[13:14], v[128:129], v[13:14]
	v_fma_f64 v[128:129], v[245:246], s[0:1], -v[57:58]
	s_delay_alu instid0(VALU_DEP_1) | instskip(NEXT) | instid1(VALU_DEP_1)
	v_add_f64 v[128:129], v[134:135], v[128:129]
	v_add_f64 v[128:129], v[130:131], v[128:129]
	v_fma_f64 v[130:131], v[140:141], s[12:13], v[31:32]
	s_delay_alu instid0(VALU_DEP_1) | instskip(SKIP_1) | instid1(VALU_DEP_1)
	v_add_f64 v[13:14], v[130:131], v[13:14]
	v_fma_f64 v[130:131], v[164:165], s[12:13], -v[33:34]
	v_add_f64 v[128:129], v[130:131], v[128:129]
	v_fma_f64 v[130:131], v[144:145], s[20:21], v[35:36]
	s_delay_alu instid0(VALU_DEP_1) | instskip(SKIP_1) | instid1(VALU_DEP_1)
	v_add_f64 v[13:14], v[130:131], v[13:14]
	v_fma_f64 v[130:131], v[166:167], s[20:21], -v[37:38]
	;; [unrolled: 5-line block ×6, first 2 shown]
	v_add_f64 v[102:103], v[13:14], v[130:131]
	s_and_saveexec_b32 s33, vcc_lo
	s_cbranch_execz .LBB0_5
; %bb.4:
	v_add_f64 v[8:9], v[134:135], v[8:9]
	s_mov_b32 s57, 0x3feec746
	s_mov_b32 s47, 0x3fe0d888
	;; [unrolled: 1-line block ×16, first 2 shown]
	v_dual_mov_b32 v129, v22 :: v_dual_mov_b32 v128, v21
	v_mul_f64 v[24:25], v[188:189], s[12:13]
	v_mul_f64 v[60:61], v[90:91], s[56:57]
	;; [unrolled: 1-line block ×10, first 2 shown]
	v_mov_b32_e32 v196, v243
	v_mul_f64 v[243:244], v[90:91], s[54:55]
	v_mul_f64 v[96:97], v[166:167], s[12:13]
	;; [unrolled: 1-line block ×8, first 2 shown]
	v_add_f64 v[6:7], v[8:9], v[6:7]
	v_add_f64 v[8:9], v[132:133], v[17:18]
	v_mul_f64 v[180:181], v[98:99], s[34:35]
	v_fma_f64 v[62:63], v[140:141], s[22:23], -v[60:61]
	v_fma_f64 v[66:67], v[154:155], s[34:35], v[64:65]
	v_fma_f64 v[70:71], v[158:159], s[44:45], v[68:69]
	v_fma_f64 v[74:75], v[150:151], s[40:41], v[72:73]
	v_fma_f64 v[72:73], v[150:151], s[42:43], v[72:73]
	v_fma_f64 v[78:79], v[154:155], s[48:49], v[76:77]
	v_fma_f64 v[82:83], v[158:159], s[10:11], v[80:81]
	v_fma_f64 v[86:87], v[162:163], s[36:37], v[84:85]
	v_add_f64 v[6:7], v[6:7], v[231:232]
	v_add_f64 v[4:5], v[8:9], v[4:5]
	v_mul_f64 v[8:9], v[245:246], s[28:29]
	s_delay_alu instid0(VALU_DEP_3) | instskip(NEXT) | instid1(VALU_DEP_3)
	v_add_f64 v[6:7], v[6:7], v[229:230]
	v_add_f64 v[4:5], v[4:5], v[217:218]
	v_mul_f64 v[217:218], v[235:236], s[24:25]
	s_delay_alu instid0(VALU_DEP_3) | instskip(NEXT) | instid1(VALU_DEP_3)
	v_add_f64 v[6:7], v[6:7], v[19:20]
	v_add_f64 v[4:5], v[4:5], v[215:216]
	v_mul_f64 v[215:216], v[235:236], s[36:37]
	s_delay_alu instid0(VALU_DEP_4)
	v_fma_f64 v[231:232], v[233:234], s[22:23], v[217:218]
	v_fma_f64 v[217:218], v[233:234], s[22:23], -v[217:218]
	v_add_f64 v[0:1], v[6:7], v[0:1]
	v_add_f64 v[4:5], v[4:5], v[219:220]
	v_mul_f64 v[6:7], v[245:246], s[30:31]
	v_mul_f64 v[219:220], v[235:236], s[26:27]
	v_fma_f64 v[229:230], v[233:234], s[28:29], v[215:216]
	v_fma_f64 v[215:216], v[233:234], s[28:29], -v[215:216]
	v_add_f64 v[231:232], v[132:133], v[231:232]
	v_add_f64 v[217:218], v[132:133], v[217:218]
	;; [unrolled: 1-line block ×4, first 2 shown]
	s_delay_alu instid0(VALU_DEP_2) | instskip(NEXT) | instid1(VALU_DEP_2)
	v_add_f64 v[0:1], v[0:1], v[213:214]
	v_add_f64 v[2:3], v[4:5], v[225:226]
	v_mul_f64 v[213:214], v[235:236], s[34:35]
	s_delay_alu instid0(VALU_DEP_3) | instskip(NEXT) | instid1(VALU_DEP_3)
	v_add_f64 v[0:1], v[0:1], v[205:206]
	v_add_f64 v[2:3], v[2:3], v[211:212]
	v_mul_f64 v[211:212], v[235:236], s[40:41]
	s_delay_alu instid0(VALU_DEP_4)
	v_fma_f64 v[227:228], v[233:234], s[30:31], v[213:214]
	v_fma_f64 v[213:214], v[233:234], s[30:31], -v[213:214]
	v_add_f64 v[0:1], v[0:1], v[201:202]
	v_add_f64 v[2:3], v[2:3], v[203:204]
	v_fma_f64 v[225:226], v[233:234], s[38:39], v[211:212]
	v_fma_f64 v[211:212], v[233:234], s[38:39], -v[211:212]
	v_fma_f64 v[201:202], v[241:242], s[44:45], v[8:9]
	v_fma_f64 v[8:9], v[241:242], s[36:37], v[8:9]
	v_add_f64 v[227:228], v[132:133], v[227:228]
	v_add_f64 v[213:214], v[132:133], v[213:214]
	;; [unrolled: 1-line block ×4, first 2 shown]
	v_fma_f64 v[199:200], v[241:242], s[46:47], v[6:7]
	v_fma_f64 v[6:7], v[241:242], s[34:35], v[6:7]
	v_mul_f64 v[192:193], v[245:246], s[12:13]
	v_add_f64 v[225:226], v[132:133], v[225:226]
	v_add_f64 v[211:212], v[132:133], v[211:212]
	;; [unrolled: 1-line block ×5, first 2 shown]
	v_mul_f64 v[14:15], v[245:246], s[20:21]
	v_add_f64 v[199:200], v[134:135], v[199:200]
	v_mul_f64 v[253:254], v[184:185], s[12:13]
	v_mul_f64 v[16:17], v[188:189], s[22:23]
	v_add_f64 v[0:1], v[0:1], v[239:240]
	v_add_f64 v[2:3], v[2:3], v[249:250]
	v_fma_f64 v[205:206], v[241:242], s[48:49], v[14:15]
	v_fma_f64 v[14:15], v[241:242], s[26:27], v[14:15]
	;; [unrolled: 1-line block ×3, first 2 shown]
	v_add_f64 v[0:1], v[0:1], v[223:224]
	v_add_f64 v[2:3], v[2:3], v[237:238]
	v_mul_f64 v[223:224], v[235:236], s[18:19]
	v_add_f64 v[249:250], v[134:135], v[14:15]
	v_mul_f64 v[14:15], v[88:89], s[52:53]
	v_add_f64 v[0:1], v[0:1], v[207:208]
	v_add_f64 v[2:3], v[2:3], v[221:222]
	v_mul_f64 v[221:222], v[235:236], s[14:15]
	v_fma_f64 v[235:236], v[233:234], s[20:21], v[219:220]
	v_fma_f64 v[219:220], v[233:234], s[20:21], -v[219:220]
	v_fma_f64 v[239:240], v[233:234], s[16:17], v[223:224]
	v_fma_f64 v[223:224], v[233:234], s[16:17], -v[223:224]
	v_fma_f64 v[207:208], v[241:242], s[50:51], v[192:193]
	v_fma_f64 v[192:193], v[241:242], s[14:15], v[192:193]
	v_add_f64 v[4:5], v[2:3], v[209:210]
	v_add_f64 v[2:3], v[0:1], v[194:195]
	v_fma_f64 v[237:238], v[233:234], s[12:13], v[221:222]
	v_fma_f64 v[221:222], v[233:234], s[12:13], -v[221:222]
	v_mul_f64 v[194:195], v[245:246], s[16:17]
	v_add_f64 v[235:236], v[132:133], v[235:236]
	v_add_f64 v[219:220], v[132:133], v[219:220]
	;; [unrolled: 1-line block ×3, first 2 shown]
	v_mul_f64 v[4:5], v[245:246], s[38:39]
	v_fma_f64 v[209:210], v[241:242], s[18:19], v[194:195]
	v_fma_f64 v[194:195], v[241:242], s[54:55], v[194:195]
	ds_store_b128 v12, v[0:3]
	v_mul_f64 v[12:13], v[245:246], s[22:23]
	v_mul_f64 v[2:3], v[233:234], s[0:1]
	v_add_f64 v[233:234], v[134:135], v[6:7]
	v_mul_f64 v[0:1], v[245:246], s[0:1]
	v_fma_f64 v[197:198], v[241:242], s[42:43], v[4:5]
	v_fma_f64 v[4:5], v[241:242], s[40:41], v[4:5]
	v_add_f64 v[245:246], v[132:133], v[229:230]
	v_add_f64 v[229:230], v[132:133], v[215:216]
	v_fma_f64 v[203:204], v[241:242], s[56:57], v[12:13]
	v_fma_f64 v[12:13], v[241:242], s[24:25], v[12:13]
	v_add_f64 v[2:3], v[2:3], -v[55:56]
	v_add_f64 v[0:1], v[57:58], v[0:1]
	v_add_f64 v[197:198], v[134:135], v[197:198]
	;; [unrolled: 1-line block ×5, first 2 shown]
	v_mul_f64 v[56:57], v[114:115], s[30:31]
	v_add_f64 v[6:7], v[134:135], v[203:204]
	v_add_f64 v[215:216], v[134:135], v[12:13]
	;; [unrolled: 1-line block ×5, first 2 shown]
	v_mul_f64 v[194:195], v[90:91], s[34:35]
	v_fma_f64 v[58:59], v[162:163], s[34:35], v[56:57]
	scratch_store_b64 off, v[6:7], off offset:472 ; 8-byte Folded Spill
	v_add_f64 v[6:7], v[134:135], v[205:206]
	v_add_f64 v[205:206], v[134:135], v[192:193]
	v_mul_f64 v[192:193], v[164:165], s[30:31]
	scratch_store_b64 off, v[0:1], off offset:440 ; 8-byte Folded Spill
	v_add_f64 v[0:1], v[132:133], v[239:240]
	v_mul_f64 v[239:240], v[108:109], s[36:37]
	scratch_store_b64 off, v[6:7], off offset:464 ; 8-byte Folded Spill
	v_add_f64 v[6:7], v[134:135], v[207:208]
	v_add_f64 v[207:208], v[132:133], v[221:222]
	;; [unrolled: 1-line block ×3, first 2 shown]
	v_fma_f64 v[134:135], v[142:143], s[46:47], v[192:193]
	v_mul_f64 v[223:224], v[98:99], s[54:55]
	scratch_store_b64 off, v[0:1], off offset:432 ; 8-byte Folded Spill
	v_mul_f64 v[0:1], v[110:111], s[50:51]
	scratch_store_b64 off, v[6:7], off offset:456 ; 8-byte Folded Spill
	v_add_f64 v[6:7], v[132:133], v[237:238]
	v_fma_f64 v[132:133], v[136:137], s[0:1], v[14:15]
	scratch_store_b64 off, v[6:7], off offset:448 ; 8-byte Folded Spill
	v_mul_f64 v[6:7], v[168:169], s[0:1]
	v_add_f64 v[132:133], v[132:133], v[225:226]
	v_mul_f64 v[225:226], v[21:22], s[28:29]
	v_mul_f64 v[20:21], v[114:115], s[20:21]
	s_delay_alu instid0(VALU_DEP_4) | instskip(SKIP_1) | instid1(VALU_DEP_3)
	v_fma_f64 v[12:13], v[138:139], s[10:11], v[6:7]
	v_fma_f64 v[6:7], v[138:139], s[52:53], v[6:7]
	;; [unrolled: 1-line block ×3, first 2 shown]
	s_delay_alu instid0(VALU_DEP_3) | instskip(SKIP_1) | instid1(VALU_DEP_4)
	v_add_f64 v[12:13], v[12:13], v[197:198]
	v_mul_f64 v[197:198], v[166:167], s[16:17]
	v_add_f64 v[4:5], v[6:7], v[4:5]
	v_fma_f64 v[6:7], v[136:137], s[0:1], -v[14:15]
	v_fma_f64 v[14:15], v[142:143], s[34:35], v[192:193]
	v_add_f64 v[12:13], v[134:135], v[12:13]
	v_fma_f64 v[134:135], v[140:141], s[30:31], v[194:195]
	s_delay_alu instid0(VALU_DEP_4) | instskip(NEXT) | instid1(VALU_DEP_4)
	v_add_f64 v[6:7], v[6:7], v[211:212]
	v_add_f64 v[4:5], v[14:15], v[4:5]
	v_fma_f64 v[14:15], v[140:141], s[30:31], -v[194:195]
	s_delay_alu instid0(VALU_DEP_4) | instskip(SKIP_1) | instid1(VALU_DEP_3)
	v_add_f64 v[132:133], v[134:135], v[132:133]
	v_fma_f64 v[134:135], v[146:147], s[18:19], v[197:198]
	v_add_f64 v[6:7], v[14:15], v[6:7]
	v_fma_f64 v[14:15], v[146:147], s[54:55], v[197:198]
	s_delay_alu instid0(VALU_DEP_3) | instskip(SKIP_1) | instid1(VALU_DEP_3)
	v_add_f64 v[12:13], v[134:135], v[12:13]
	v_fma_f64 v[134:135], v[144:145], s[16:17], v[223:224]
	v_add_f64 v[4:5], v[14:15], v[4:5]
	v_fma_f64 v[14:15], v[144:145], s[16:17], -v[223:224]
	s_delay_alu instid0(VALU_DEP_3) | instskip(SKIP_1) | instid1(VALU_DEP_3)
	v_add_f64 v[132:133], v[134:135], v[132:133]
	v_fma_f64 v[134:135], v[150:151], s[44:45], v[225:226]
	v_add_f64 v[6:7], v[14:15], v[6:7]
	v_fma_f64 v[14:15], v[150:151], s[36:37], v[225:226]
	s_delay_alu instid0(VALU_DEP_3) | instskip(SKIP_1) | instid1(VALU_DEP_3)
	v_add_f64 v[12:13], v[134:135], v[12:13]
	v_fma_f64 v[134:135], v[148:149], s[28:29], v[239:240]
	v_add_f64 v[4:5], v[14:15], v[4:5]
	v_fma_f64 v[14:15], v[148:149], s[28:29], -v[239:240]
	v_mul_f64 v[239:240], v[114:115], s[22:23]
	s_delay_alu instid0(VALU_DEP_4) | instskip(SKIP_1) | instid1(VALU_DEP_4)
	v_add_f64 v[132:133], v[134:135], v[132:133]
	v_fma_f64 v[134:135], v[154:155], s[14:15], v[253:254]
	v_add_f64 v[6:7], v[14:15], v[6:7]
	v_fma_f64 v[14:15], v[154:155], s[50:51], v[253:254]
	v_mul_f64 v[253:254], v[112:113], s[24:25]
	s_delay_alu instid0(VALU_DEP_4) | instskip(SKIP_3) | instid1(VALU_DEP_4)
	v_add_f64 v[12:13], v[134:135], v[12:13]
	v_fma_f64 v[134:135], v[152:153], s[12:13], v[0:1]
	v_fma_f64 v[0:1], v[152:153], s[12:13], -v[0:1]
	v_add_f64 v[4:5], v[14:15], v[4:5]
	v_add_f64 v[12:13], v[18:19], v[12:13]
	v_mul_f64 v[18:19], v[190:191], s[24:25]
	v_add_f64 v[132:133], v[134:135], v[132:133]
	v_add_f64 v[0:1], v[0:1], v[6:7]
	v_fma_f64 v[6:7], v[158:159], s[24:25], v[16:17]
	v_mul_f64 v[16:17], v[88:89], s[50:51]
	v_fma_f64 v[134:135], v[156:157], s[22:23], v[18:19]
	s_delay_alu instid0(VALU_DEP_3)
	v_add_f64 v[4:5], v[6:7], v[4:5]
	v_fma_f64 v[6:7], v[156:157], s[22:23], -v[18:19]
	v_mul_f64 v[18:19], v[164:165], s[20:21]
	v_fma_f64 v[14:15], v[136:137], s[12:13], v[16:17]
	v_fma_f64 v[16:17], v[136:137], s[12:13], -v[16:17]
	v_add_f64 v[132:133], v[134:135], v[132:133]
	v_add_f64 v[134:135], v[22:23], v[12:13]
	v_mul_f64 v[12:13], v[112:113], s[48:49]
	v_add_f64 v[0:1], v[6:7], v[0:1]
	v_fma_f64 v[6:7], v[162:163], s[48:49], v[20:21]
	v_fma_f64 v[20:21], v[142:143], s[48:49], v[18:19]
	v_add_f64 v[14:15], v[14:15], v[227:228]
	v_fma_f64 v[18:19], v[142:143], s[26:27], v[18:19]
	v_add_f64 v[16:17], v[16:17], v[213:214]
	v_mul_f64 v[213:214], v[184:185], s[28:29]
	v_fma_f64 v[22:23], v[160:161], s[20:21], v[12:13]
	v_fma_f64 v[12:13], v[160:161], s[20:21], -v[12:13]
	v_add_f64 v[6:7], v[6:7], v[4:5]
	s_delay_alu instid0(VALU_DEP_4) | instskip(NEXT) | instid1(VALU_DEP_4)
	v_add_f64 v[213:214], v[47:48], v[213:214]
	v_add_f64 v[132:133], v[22:23], v[132:133]
	s_delay_alu instid0(VALU_DEP_4) | instskip(SKIP_1) | instid1(VALU_DEP_1)
	v_add_f64 v[4:5], v[12:13], v[0:1]
	v_mul_f64 v[0:1], v[168:169], s[12:13]
	v_fma_f64 v[12:13], v[138:139], s[14:15], v[0:1]
	v_fma_f64 v[0:1], v[138:139], s[50:51], v[0:1]
	s_delay_alu instid0(VALU_DEP_2) | instskip(NEXT) | instid1(VALU_DEP_2)
	v_add_f64 v[12:13], v[12:13], v[199:200]
	v_add_f64 v[0:1], v[0:1], v[233:234]
	v_mul_f64 v[233:234], v[108:109], s[46:47]
	s_delay_alu instid0(VALU_DEP_3) | instskip(SKIP_1) | instid1(VALU_DEP_4)
	v_add_f64 v[12:13], v[20:21], v[12:13]
	v_mul_f64 v[20:21], v[90:91], s[26:27]
	v_add_f64 v[0:1], v[18:19], v[0:1]
	s_delay_alu instid0(VALU_DEP_2) | instskip(SKIP_2) | instid1(VALU_DEP_3)
	v_fma_f64 v[22:23], v[140:141], s[20:21], v[20:21]
	v_fma_f64 v[18:19], v[140:141], s[20:21], -v[20:21]
	v_fma_f64 v[20:21], v[160:161], s[22:23], -v[253:254]
	v_add_f64 v[14:15], v[22:23], v[14:15]
	v_mul_f64 v[22:23], v[166:167], s[28:29]
	s_delay_alu instid0(VALU_DEP_4) | instskip(NEXT) | instid1(VALU_DEP_2)
	v_add_f64 v[16:17], v[18:19], v[16:17]
	v_fma_f64 v[192:193], v[146:147], s[36:37], v[22:23]
	v_fma_f64 v[18:19], v[146:147], s[44:45], v[22:23]
	v_mul_f64 v[22:23], v[166:167], s[20:21]
	s_delay_alu instid0(VALU_DEP_3) | instskip(SKIP_1) | instid1(VALU_DEP_4)
	v_add_f64 v[12:13], v[192:193], v[12:13]
	v_mul_f64 v[192:193], v[98:99], s[44:45]
	v_add_f64 v[0:1], v[18:19], v[0:1]
	s_delay_alu instid0(VALU_DEP_4) | instskip(NEXT) | instid1(VALU_DEP_3)
	v_add_f64 v[22:23], v[37:38], v[22:23]
	v_fma_f64 v[194:195], v[144:145], s[28:29], v[192:193]
	v_fma_f64 v[18:19], v[144:145], s[28:29], -v[192:193]
	s_delay_alu instid0(VALU_DEP_2) | instskip(SKIP_1) | instid1(VALU_DEP_3)
	v_add_f64 v[14:15], v[194:195], v[14:15]
	v_mul_f64 v[194:195], v[128:129], s[0:1]
	v_add_f64 v[16:17], v[18:19], v[16:17]
	s_delay_alu instid0(VALU_DEP_2) | instskip(SKIP_1) | instid1(VALU_DEP_2)
	v_fma_f64 v[197:198], v[150:151], s[52:53], v[194:195]
	v_fma_f64 v[18:19], v[150:151], s[10:11], v[194:195]
	v_add_f64 v[12:13], v[197:198], v[12:13]
	v_mul_f64 v[197:198], v[108:109], s[10:11]
	s_delay_alu instid0(VALU_DEP_3) | instskip(NEXT) | instid1(VALU_DEP_2)
	v_add_f64 v[0:1], v[18:19], v[0:1]
	v_fma_f64 v[199:200], v[148:149], s[0:1], v[197:198]
	v_fma_f64 v[18:19], v[148:149], s[0:1], -v[197:198]
	v_mul_f64 v[197:198], v[144:145], s[20:21]
	s_delay_alu instid0(VALU_DEP_3) | instskip(SKIP_1) | instid1(VALU_DEP_4)
	v_add_f64 v[14:15], v[199:200], v[14:15]
	v_mul_f64 v[199:200], v[184:185], s[38:39]
	v_add_f64 v[16:17], v[18:19], v[16:17]
	s_delay_alu instid0(VALU_DEP_4) | instskip(SKIP_1) | instid1(VALU_DEP_4)
	v_add_f64 v[197:198], v[197:198], -v[35:36]
	v_mul_f64 v[36:37], v[164:165], s[38:39]
	v_fma_f64 v[211:212], v[154:155], s[42:43], v[199:200]
	v_fma_f64 v[18:19], v[154:155], s[40:41], v[199:200]
	v_mul_f64 v[199:200], v[128:129], s[22:23]
	s_delay_alu instid0(VALU_DEP_3) | instskip(SKIP_1) | instid1(VALU_DEP_4)
	v_add_f64 v[12:13], v[211:212], v[12:13]
	v_mul_f64 v[211:212], v[110:111], s[40:41]
	v_add_f64 v[0:1], v[18:19], v[0:1]
	s_delay_alu instid0(VALU_DEP_4) | instskip(NEXT) | instid1(VALU_DEP_3)
	v_add_f64 v[199:200], v[43:44], v[199:200]
	v_fma_f64 v[223:224], v[152:153], s[38:39], v[211:212]
	v_fma_f64 v[18:19], v[152:153], s[38:39], -v[211:212]
	v_mul_f64 v[211:212], v[148:149], s[22:23]
	s_delay_alu instid0(VALU_DEP_3) | instskip(SKIP_1) | instid1(VALU_DEP_4)
	v_add_f64 v[14:15], v[223:224], v[14:15]
	v_mul_f64 v[223:224], v[188:189], s[16:17]
	v_add_f64 v[16:17], v[18:19], v[16:17]
	s_delay_alu instid0(VALU_DEP_4) | instskip(SKIP_1) | instid1(VALU_DEP_4)
	v_add_f64 v[211:212], v[211:212], -v[39:40]
	v_fma_f64 v[38:39], v[142:143], s[42:43], v[36:37]
	v_fma_f64 v[225:226], v[158:159], s[18:19], v[223:224]
	;; [unrolled: 1-line block ×3, first 2 shown]
	v_mul_f64 v[223:224], v[166:167], s[38:39]
	s_delay_alu instid0(VALU_DEP_3) | instskip(SKIP_1) | instid1(VALU_DEP_4)
	v_add_f64 v[12:13], v[225:226], v[12:13]
	v_mul_f64 v[225:226], v[190:191], s[54:55]
	v_add_f64 v[0:1], v[18:19], v[0:1]
	s_delay_alu instid0(VALU_DEP_2) | instskip(SKIP_2) | instid1(VALU_DEP_3)
	v_fma_f64 v[18:19], v[156:157], s[16:17], -v[225:226]
	v_fma_f64 v[227:228], v[156:157], s[16:17], v[225:226]
	v_mul_f64 v[225:226], v[98:99], s[40:41]
	v_add_f64 v[16:17], v[18:19], v[16:17]
	v_fma_f64 v[18:19], v[162:163], s[24:25], v[239:240]
	s_delay_alu instid0(VALU_DEP_4)
	v_add_f64 v[227:228], v[227:228], v[14:15]
	v_fma_f64 v[14:15], v[162:163], s[56:57], v[239:240]
	v_mul_f64 v[239:240], v[184:185], s[22:23]
	v_add_f64 v[192:193], v[20:21], v[16:17]
	v_add_f64 v[194:195], v[18:19], v[0:1]
	v_mul_f64 v[0:1], v[168:169], s[16:17]
	v_mul_f64 v[16:17], v[136:137], s[16:17]
	;; [unrolled: 1-line block ×4, first 2 shown]
	v_add_f64 v[14:15], v[14:15], v[12:13]
	v_fma_f64 v[12:13], v[160:161], s[22:23], v[253:254]
	v_mul_f64 v[253:254], v[110:111], s[56:57]
	v_add_f64 v[0:1], v[29:30], v[0:1]
	v_add_f64 v[16:17], v[16:17], -v[27:28]
	v_add_f64 v[18:19], v[33:34], v[18:19]
	v_add_f64 v[20:21], v[20:21], -v[31:32]
	v_fma_f64 v[26:27], v[158:159], s[50:51], v[24:25]
	v_add_f64 v[12:13], v[12:13], v[227:228]
	v_mul_f64 v[227:228], v[128:129], s[30:31]
	v_mul_f64 v[28:29], v[114:115], s[0:1]
	;; [unrolled: 1-line block ×3, first 2 shown]
	v_add_f64 v[0:1], v[0:1], v[203:204]
	v_add_f64 v[16:17], v[16:17], v[209:210]
	v_mul_f64 v[203:204], v[152:153], s[28:29]
	v_fma_f64 v[30:31], v[162:163], s[52:53], v[28:29]
	v_fma_f64 v[34:35], v[136:137], s[28:29], -v[32:33]
	v_add_f64 v[0:1], v[18:19], v[0:1]
	v_add_f64 v[16:17], v[20:21], v[16:17]
	v_mul_f64 v[18:19], v[188:189], s[30:31]
	v_add_f64 v[203:204], v[203:204], -v[41:42]
	v_mul_f64 v[20:21], v[156:157], s[30:31]
	v_mul_f64 v[40:41], v[166:167], s[22:23]
	v_add_f64 v[34:35], v[34:35], v[207:208]
	v_add_f64 v[0:1], v[22:23], v[0:1]
	;; [unrolled: 1-line block ×4, first 2 shown]
	v_mul_f64 v[22:23], v[114:115], s[38:39]
	v_add_f64 v[20:21], v[20:21], -v[45:46]
	v_mul_f64 v[197:198], v[160:161], s[38:39]
	v_fma_f64 v[42:43], v[146:147], s[56:57], v[40:41]
	v_mul_f64 v[44:45], v[128:129], s[16:17]
	v_mul_f64 v[128:129], v[128:129], s[20:21]
	v_add_f64 v[0:1], v[199:200], v[0:1]
	v_add_f64 v[16:17], v[211:212], v[16:17]
	;; [unrolled: 1-line block ×3, first 2 shown]
	v_mul_f64 v[52:53], v[188:189], s[20:21]
	v_add_f64 v[197:198], v[197:198], -v[49:50]
	v_mul_f64 v[48:49], v[184:185], s[0:1]
	v_fma_f64 v[46:47], v[150:151], s[54:55], v[44:45]
	v_fma_f64 v[130:131], v[150:151], s[48:49], v[128:129]
	v_mul_f64 v[184:185], v[184:185], s[16:17]
	v_mul_f64 v[188:189], v[188:189], s[38:39]
	v_add_f64 v[0:1], v[213:214], v[0:1]
	v_add_f64 v[16:17], v[203:204], v[16:17]
	v_fma_f64 v[54:55], v[158:159], s[26:27], v[52:53]
	v_fma_f64 v[50:51], v[154:155], s[10:11], v[48:49]
	s_delay_alu instid0(VALU_DEP_4) | instskip(NEXT) | instid1(VALU_DEP_4)
	v_add_f64 v[0:1], v[18:19], v[0:1]
	v_add_f64 v[16:17], v[20:21], v[16:17]
	v_mul_f64 v[18:19], v[88:89], s[26:27]
	s_delay_alu instid0(VALU_DEP_3) | instskip(SKIP_1) | instid1(VALU_DEP_4)
	v_add_f64 v[199:200], v[22:23], v[0:1]
	v_mul_f64 v[0:1], v[168:169], s[20:21]
	v_add_f64 v[197:198], v[197:198], v[16:17]
	s_delay_alu instid0(VALU_DEP_4) | instskip(SKIP_1) | instid1(VALU_DEP_4)
	v_fma_f64 v[20:21], v[136:137], s[20:21], -v[18:19]
	v_mul_f64 v[22:23], v[164:165], s[28:29]
	v_fma_f64 v[16:17], v[138:139], s[26:27], v[0:1]
	v_fma_f64 v[0:1], v[138:139], s[48:49], v[0:1]
	s_delay_alu instid0(VALU_DEP_4) | instskip(SKIP_1) | instid1(VALU_DEP_4)
	v_add_f64 v[20:21], v[20:21], v[221:222]
	v_mul_f64 v[221:222], v[90:91], s[36:37]
	v_add_f64 v[16:17], v[16:17], v[201:202]
	v_fma_f64 v[201:202], v[142:143], s[36:37], v[22:23]
	s_delay_alu instid0(VALU_DEP_1) | instskip(NEXT) | instid1(VALU_DEP_4)
	v_add_f64 v[16:17], v[201:202], v[16:17]
	v_fma_f64 v[201:202], v[140:141], s[28:29], -v[221:222]
	s_delay_alu instid0(VALU_DEP_1) | instskip(SKIP_1) | instid1(VALU_DEP_1)
	v_add_f64 v[20:21], v[201:202], v[20:21]
	v_fma_f64 v[201:202], v[146:147], s[40:41], v[223:224]
	v_add_f64 v[16:17], v[201:202], v[16:17]
	v_fma_f64 v[201:202], v[144:145], s[38:39], -v[225:226]
	s_delay_alu instid0(VALU_DEP_1) | instskip(SKIP_1) | instid1(VALU_DEP_1)
	v_add_f64 v[20:21], v[201:202], v[20:21]
	v_fma_f64 v[201:202], v[150:151], s[46:47], v[227:228]
	;; [unrolled: 5-line block ×3, first 2 shown]
	v_add_f64 v[16:17], v[201:202], v[16:17]
	v_fma_f64 v[201:202], v[152:153], s[22:23], -v[253:254]
	s_delay_alu instid0(VALU_DEP_2) | instskip(SKIP_1) | instid1(VALU_DEP_3)
	v_add_f64 v[16:17], v[26:27], v[16:17]
	v_mul_f64 v[26:27], v[190:191], s[50:51]
	v_add_f64 v[20:21], v[201:202], v[20:21]
	s_delay_alu instid0(VALU_DEP_3) | instskip(NEXT) | instid1(VALU_DEP_3)
	v_add_f64 v[203:204], v[30:31], v[16:17]
	v_fma_f64 v[201:202], v[156:157], s[12:13], -v[26:27]
	v_mul_f64 v[16:17], v[112:113], s[52:53]
	s_delay_alu instid0(VALU_DEP_2) | instskip(NEXT) | instid1(VALU_DEP_2)
	v_add_f64 v[20:21], v[201:202], v[20:21]
	v_fma_f64 v[30:31], v[160:161], s[0:1], -v[16:17]
	v_fma_f64 v[16:17], v[160:161], s[0:1], v[16:17]
	s_delay_alu instid0(VALU_DEP_2) | instskip(SKIP_1) | instid1(VALU_DEP_1)
	v_add_f64 v[201:202], v[30:31], v[20:21]
	v_mul_f64 v[20:21], v[168:169], s[28:29]
	v_fma_f64 v[30:31], v[138:139], s[36:37], v[20:21]
	s_delay_alu instid0(VALU_DEP_1) | instskip(NEXT) | instid1(VALU_DEP_1)
	v_add_f64 v[30:31], v[30:31], v[205:206]
	v_add_f64 v[30:31], v[38:39], v[30:31]
	v_mul_f64 v[38:39], v[90:91], s[42:43]
	s_delay_alu instid0(VALU_DEP_2) | instskip(NEXT) | instid1(VALU_DEP_2)
	v_add_f64 v[30:31], v[42:43], v[30:31]
	v_fma_f64 v[205:206], v[140:141], s[38:39], -v[38:39]
	v_mul_f64 v[42:43], v[98:99], s[56:57]
	s_delay_alu instid0(VALU_DEP_3) | instskip(NEXT) | instid1(VALU_DEP_3)
	v_add_f64 v[30:31], v[46:47], v[30:31]
	v_add_f64 v[34:35], v[205:206], v[34:35]
	s_delay_alu instid0(VALU_DEP_3) | instskip(SKIP_1) | instid1(VALU_DEP_4)
	v_fma_f64 v[205:206], v[144:145], s[22:23], -v[42:43]
	v_mul_f64 v[46:47], v[108:109], s[54:55]
	v_add_f64 v[30:31], v[50:51], v[30:31]
	v_mul_f64 v[50:51], v[110:111], s[10:11]
	s_delay_alu instid0(VALU_DEP_4) | instskip(NEXT) | instid1(VALU_DEP_4)
	v_add_f64 v[34:35], v[205:206], v[34:35]
	v_fma_f64 v[205:206], v[148:149], s[16:17], -v[46:47]
	s_delay_alu instid0(VALU_DEP_4) | instskip(SKIP_1) | instid1(VALU_DEP_3)
	v_add_f64 v[30:31], v[54:55], v[30:31]
	v_mul_f64 v[54:55], v[190:191], s[26:27]
	v_add_f64 v[34:35], v[205:206], v[34:35]
	v_fma_f64 v[205:206], v[152:153], s[0:1], -v[50:51]
	s_delay_alu instid0(VALU_DEP_4) | instskip(SKIP_1) | instid1(VALU_DEP_3)
	v_add_f64 v[207:208], v[58:59], v[30:31]
	v_mul_f64 v[30:31], v[112:113], s[34:35]
	v_add_f64 v[34:35], v[205:206], v[34:35]
	v_fma_f64 v[205:206], v[156:157], s[20:21], -v[54:55]
	s_delay_alu instid0(VALU_DEP_3) | instskip(SKIP_1) | instid1(VALU_DEP_3)
	v_fma_f64 v[58:59], v[160:161], s[30:31], -v[30:31]
	v_fma_f64 v[30:31], v[160:161], s[30:31], v[30:31]
	v_add_f64 v[34:35], v[205:206], v[34:35]
	s_delay_alu instid0(VALU_DEP_1) | instskip(SKIP_1) | instid1(VALU_DEP_1)
	v_add_f64 v[205:206], v[58:59], v[34:35]
	v_mul_f64 v[34:35], v[168:169], s[38:39]
	v_fma_f64 v[58:59], v[138:139], s[40:41], v[34:35]
	s_delay_alu instid0(VALU_DEP_1) | instskip(SKIP_1) | instid1(VALU_DEP_1)
	v_add_f64 v[58:59], v[58:59], v[249:250]
	v_mul_f64 v[249:250], v[88:89], s[40:41]
	v_fma_f64 v[209:210], v[136:137], s[38:39], -v[249:250]
	s_delay_alu instid0(VALU_DEP_1) | instskip(SKIP_1) | instid1(VALU_DEP_2)
	v_add_f64 v[209:210], v[209:210], v[219:220]
	v_mul_f64 v[219:220], v[164:165], s[22:23]
	v_add_f64 v[62:63], v[62:63], v[209:210]
	s_delay_alu instid0(VALU_DEP_2) | instskip(SKIP_1) | instid1(VALU_DEP_2)
	v_fma_f64 v[211:212], v[142:143], s[56:57], v[219:220]
	v_fma_f64 v[209:210], v[146:147], s[52:53], v[178:179]
	v_add_f64 v[58:59], v[211:212], v[58:59]
	s_delay_alu instid0(VALU_DEP_1) | instskip(SKIP_1) | instid1(VALU_DEP_1)
	v_add_f64 v[58:59], v[209:210], v[58:59]
	v_fma_f64 v[209:210], v[144:145], s[0:1], -v[251:252]
	v_add_f64 v[62:63], v[209:210], v[62:63]
	v_fma_f64 v[209:210], v[150:151], s[14:15], v[182:183]
	s_delay_alu instid0(VALU_DEP_1) | instskip(SKIP_1) | instid1(VALU_DEP_2)
	v_add_f64 v[58:59], v[209:210], v[58:59]
	v_fma_f64 v[209:210], v[148:149], s[12:13], -v[186:187]
	v_add_f64 v[58:59], v[66:67], v[58:59]
	v_mul_f64 v[66:67], v[110:111], s[34:35]
	s_delay_alu instid0(VALU_DEP_3) | instskip(NEXT) | instid1(VALU_DEP_3)
	v_add_f64 v[62:63], v[209:210], v[62:63]
	v_add_f64 v[58:59], v[70:71], v[58:59]
	s_delay_alu instid0(VALU_DEP_3) | instskip(SKIP_1) | instid1(VALU_DEP_2)
	v_fma_f64 v[209:210], v[152:153], s[30:31], -v[66:67]
	v_mul_f64 v[70:71], v[190:191], s[44:45]
	v_add_f64 v[62:63], v[209:210], v[62:63]
	s_delay_alu instid0(VALU_DEP_2) | instskip(NEXT) | instid1(VALU_DEP_1)
	v_fma_f64 v[209:210], v[156:157], s[28:29], -v[70:71]
	v_add_f64 v[62:63], v[209:210], v[62:63]
	v_fma_f64 v[209:210], v[162:163], s[54:55], v[176:177]
	s_delay_alu instid0(VALU_DEP_1) | instskip(SKIP_1) | instid1(VALU_DEP_1)
	v_add_f64 v[211:212], v[209:210], v[58:59]
	v_mul_f64 v[58:59], v[112:113], s[54:55]
	v_fma_f64 v[209:210], v[160:161], s[16:17], -v[58:59]
	v_fma_f64 v[58:59], v[160:161], s[16:17], v[58:59]
	s_delay_alu instid0(VALU_DEP_2) | instskip(SKIP_1) | instid1(VALU_DEP_1)
	v_add_f64 v[209:210], v[209:210], v[62:63]
	v_mul_f64 v[62:63], v[168:169], s[30:31]
	v_fma_f64 v[213:214], v[138:139], s[46:47], v[62:63]
	s_delay_alu instid0(VALU_DEP_1) | instskip(SKIP_1) | instid1(VALU_DEP_1)
	v_add_f64 v[213:214], v[213:214], v[215:216]
	v_fma_f64 v[215:216], v[136:137], s[30:31], -v[172:173]
	v_add_f64 v[215:216], v[215:216], v[217:218]
	v_mul_f64 v[217:218], v[164:165], s[16:17]
	s_delay_alu instid0(VALU_DEP_1) | instskip(NEXT) | instid1(VALU_DEP_1)
	v_fma_f64 v[2:3], v[142:143], s[54:55], v[217:218]
	v_add_f64 v[2:3], v[2:3], v[213:214]
	v_fma_f64 v[213:214], v[140:141], s[16:17], -v[243:244]
	s_delay_alu instid0(VALU_DEP_1) | instskip(SKIP_1) | instid1(VALU_DEP_1)
	v_add_f64 v[213:214], v[213:214], v[215:216]
	v_fma_f64 v[215:216], v[146:147], s[14:15], v[96:97]
	v_add_f64 v[2:3], v[215:216], v[2:3]
	v_fma_f64 v[215:216], v[144:145], s[12:13], -v[174:175]
	s_delay_alu instid0(VALU_DEP_2) | instskip(SKIP_1) | instid1(VALU_DEP_3)
	v_add_f64 v[2:3], v[74:75], v[2:3]
	v_mul_f64 v[74:75], v[108:109], s[40:41]
	v_add_f64 v[213:214], v[215:216], v[213:214]
	s_delay_alu instid0(VALU_DEP_3) | instskip(NEXT) | instid1(VALU_DEP_3)
	v_add_f64 v[2:3], v[78:79], v[2:3]
	v_fma_f64 v[215:216], v[148:149], s[38:39], -v[74:75]
	v_mul_f64 v[78:79], v[110:111], s[48:49]
	s_delay_alu instid0(VALU_DEP_3) | instskip(NEXT) | instid1(VALU_DEP_3)
	v_add_f64 v[2:3], v[82:83], v[2:3]
	v_add_f64 v[213:214], v[215:216], v[213:214]
	s_delay_alu instid0(VALU_DEP_3) | instskip(SKIP_1) | instid1(VALU_DEP_2)
	v_fma_f64 v[215:216], v[152:153], s[20:21], -v[78:79]
	v_mul_f64 v[82:83], v[190:191], s[10:11]
	v_add_f64 v[213:214], v[215:216], v[213:214]
	s_delay_alu instid0(VALU_DEP_2) | instskip(NEXT) | instid1(VALU_DEP_1)
	v_fma_f64 v[215:216], v[156:157], s[0:1], -v[82:83]
	v_add_f64 v[213:214], v[215:216], v[213:214]
	v_add_f64 v[215:216], v[86:87], v[2:3]
	v_mul_f64 v[2:3], v[112:113], s[36:37]
	s_delay_alu instid0(VALU_DEP_1) | instskip(SKIP_1) | instid1(VALU_DEP_2)
	v_fma_f64 v[86:87], v[160:161], s[28:29], -v[2:3]
	v_fma_f64 v[2:3], v[160:161], s[28:29], v[2:3]
	v_add_f64 v[213:214], v[86:87], v[213:214]
	v_mul_f64 v[86:87], v[168:169], s[22:23]
	s_delay_alu instid0(VALU_DEP_1) | instskip(NEXT) | instid1(VALU_DEP_1)
	v_fma_f64 v[168:169], v[138:139], s[56:57], v[86:87]
	v_add_f64 v[8:9], v[168:169], v[8:9]
	v_mul_f64 v[168:169], v[88:89], s[56:57]
	v_mul_f64 v[88:89], v[110:111], s[18:19]
	s_delay_alu instid0(VALU_DEP_2) | instskip(NEXT) | instid1(VALU_DEP_2)
	v_fma_f64 v[237:238], v[136:137], s[22:23], -v[168:169]
	v_fma_f64 v[90:91], v[152:153], s[16:17], -v[88:89]
	v_fma_f64 v[88:89], v[152:153], s[16:17], v[88:89]
	s_delay_alu instid0(VALU_DEP_3) | instskip(SKIP_1) | instid1(VALU_DEP_1)
	v_add_f64 v[229:230], v[237:238], v[229:230]
	v_mul_f64 v[237:238], v[164:165], s[0:1]
	v_fma_f64 v[164:165], v[142:143], s[10:11], v[237:238]
	s_delay_alu instid0(VALU_DEP_1) | instskip(SKIP_1) | instid1(VALU_DEP_1)
	v_add_f64 v[8:9], v[164:165], v[8:9]
	v_fma_f64 v[164:165], v[140:141], s[0:1], -v[170:171]
	v_add_f64 v[164:165], v[164:165], v[229:230]
	v_mul_f64 v[229:230], v[166:167], s[30:31]
	s_delay_alu instid0(VALU_DEP_1) | instskip(NEXT) | instid1(VALU_DEP_1)
	v_fma_f64 v[166:167], v[146:147], s[34:35], v[229:230]
	v_add_f64 v[8:9], v[166:167], v[8:9]
	v_fma_f64 v[166:167], v[144:145], s[30:31], -v[180:181]
	s_delay_alu instid0(VALU_DEP_2) | instskip(SKIP_1) | instid1(VALU_DEP_3)
	v_add_f64 v[8:9], v[130:131], v[8:9]
	v_mul_f64 v[130:131], v[108:109], s[48:49]
	v_add_f64 v[164:165], v[166:167], v[164:165]
	v_dual_mov_b32 v111, v103 :: v_dual_mov_b32 v110, v102
	v_dual_mov_b32 v109, v101 :: v_dual_mov_b32 v108, v100
	;; [unrolled: 1-line block ×4, first 2 shown]
	v_mul_f64 v[92:93], v[190:191], s[40:41]
	v_mul_f64 v[190:191], v[112:113], s[50:51]
	v_fma_f64 v[166:167], v[148:149], s[20:21], -v[130:131]
	s_delay_alu instid0(VALU_DEP_3) | instskip(NEXT) | instid1(VALU_DEP_2)
	v_fma_f64 v[94:95], v[156:157], s[38:39], -v[92:93]
	v_add_f64 v[164:165], v[166:167], v[164:165]
	v_fma_f64 v[166:167], v[154:155], s[18:19], v[184:185]
	s_delay_alu instid0(VALU_DEP_2) | instskip(NEXT) | instid1(VALU_DEP_2)
	v_add_f64 v[90:91], v[90:91], v[164:165]
	v_add_f64 v[8:9], v[166:167], v[8:9]
	v_fma_f64 v[164:165], v[158:159], s[40:41], v[188:189]
	s_delay_alu instid0(VALU_DEP_3) | instskip(SKIP_1) | instid1(VALU_DEP_3)
	v_add_f64 v[90:91], v[94:95], v[90:91]
	v_mul_f64 v[94:95], v[114:115], s[12:13]
	v_add_f64 v[8:9], v[164:165], v[8:9]
	s_delay_alu instid0(VALU_DEP_2) | instskip(NEXT) | instid1(VALU_DEP_1)
	v_fma_f64 v[164:165], v[162:163], s[50:51], v[94:95]
	v_add_f64 v[166:167], v[164:165], v[8:9]
	v_fma_f64 v[8:9], v[160:161], s[12:13], -v[190:191]
	s_delay_alu instid0(VALU_DEP_1) | instskip(SKIP_3) | instid1(VALU_DEP_3)
	v_add_f64 v[164:165], v[8:9], v[90:91]
	v_fma_f64 v[8:9], v[138:139], s[24:25], v[86:87]
	v_fma_f64 v[86:87], v[136:137], s[22:23], v[168:169]
	;; [unrolled: 1-line block ×3, first 2 shown]
	v_add_f64 v[8:9], v[8:9], v[241:242]
	s_delay_alu instid0(VALU_DEP_3) | instskip(NEXT) | instid1(VALU_DEP_2)
	v_add_f64 v[86:87], v[86:87], v[245:246]
	v_add_f64 v[8:9], v[90:91], v[8:9]
	v_fma_f64 v[90:91], v[140:141], s[0:1], v[170:171]
	s_delay_alu instid0(VALU_DEP_1) | instskip(SKIP_1) | instid1(VALU_DEP_1)
	v_add_f64 v[86:87], v[90:91], v[86:87]
	v_fma_f64 v[90:91], v[146:147], s[46:47], v[229:230]
	v_add_f64 v[8:9], v[90:91], v[8:9]
	v_fma_f64 v[90:91], v[144:145], s[30:31], v[180:181]
	s_delay_alu instid0(VALU_DEP_1) | instskip(SKIP_1) | instid1(VALU_DEP_1)
	v_add_f64 v[86:87], v[90:91], v[86:87]
	v_fma_f64 v[90:91], v[150:151], s[26:27], v[128:129]
	v_add_f64 v[8:9], v[90:91], v[8:9]
	v_fma_f64 v[90:91], v[148:149], s[20:21], v[130:131]
	s_delay_alu instid0(VALU_DEP_1) | instskip(SKIP_1) | instid1(VALU_DEP_2)
	v_add_f64 v[86:87], v[90:91], v[86:87]
	v_fma_f64 v[90:91], v[154:155], s[54:55], v[184:185]
	v_add_f64 v[86:87], v[88:89], v[86:87]
	s_delay_alu instid0(VALU_DEP_2) | instskip(SKIP_2) | instid1(VALU_DEP_2)
	v_add_f64 v[8:9], v[90:91], v[8:9]
	v_fma_f64 v[88:89], v[158:159], s[42:43], v[188:189]
	v_fma_f64 v[90:91], v[160:161], s[12:13], v[190:191]
	v_add_f64 v[8:9], v[88:89], v[8:9]
	v_fma_f64 v[88:89], v[156:157], s[38:39], v[92:93]
	s_delay_alu instid0(VALU_DEP_1)
	v_add_f64 v[86:87], v[88:89], v[86:87]
	v_fma_f64 v[88:89], v[162:163], s[14:15], v[94:95]
	v_dual_mov_b32 v92, v98 :: v_dual_mov_b32 v93, v99
	v_dual_mov_b32 v94, v100 :: v_dual_mov_b32 v95, v101
	v_dual_mov_b32 v100, v108 :: v_dual_mov_b32 v103, v111
	v_dual_mov_b32 v102, v110 :: v_dual_mov_b32 v101, v109
	v_add_f64 v[168:169], v[90:91], v[86:87]
	v_add_f64 v[170:171], v[88:89], v[8:9]
	v_fma_f64 v[8:9], v[138:139], s[34:35], v[62:63]
	scratch_load_b64 v[62:63], off, off offset:472 ; 8-byte Folded Reload
	v_fma_f64 v[86:87], v[142:143], s[18:19], v[217:218]
	s_waitcnt vmcnt(0)
	v_add_f64 v[8:9], v[8:9], v[62:63]
	v_fma_f64 v[62:63], v[136:137], s[30:31], v[172:173]
	s_delay_alu instid0(VALU_DEP_2) | instskip(NEXT) | instid1(VALU_DEP_2)
	v_add_f64 v[8:9], v[86:87], v[8:9]
	v_add_f64 v[62:63], v[62:63], v[231:232]
	v_fma_f64 v[86:87], v[140:141], s[16:17], v[243:244]
	v_mov_b32_e32 v243, v196
	s_delay_alu instid0(VALU_DEP_2) | instskip(SKIP_1) | instid1(VALU_DEP_1)
	v_add_f64 v[62:63], v[86:87], v[62:63]
	v_fma_f64 v[86:87], v[146:147], s[50:51], v[96:97]
	v_add_f64 v[8:9], v[86:87], v[8:9]
	v_fma_f64 v[86:87], v[144:145], s[12:13], v[174:175]
	s_delay_alu instid0(VALU_DEP_2) | instskip(NEXT) | instid1(VALU_DEP_2)
	v_add_f64 v[8:9], v[72:73], v[8:9]
	v_add_f64 v[62:63], v[86:87], v[62:63]
	v_fma_f64 v[72:73], v[148:149], s[38:39], v[74:75]
	s_delay_alu instid0(VALU_DEP_1) | instskip(SKIP_1) | instid1(VALU_DEP_1)
	v_add_f64 v[62:63], v[72:73], v[62:63]
	v_fma_f64 v[72:73], v[154:155], s[26:27], v[76:77]
	v_add_f64 v[8:9], v[72:73], v[8:9]
	v_fma_f64 v[72:73], v[152:153], s[20:21], v[78:79]
	s_delay_alu instid0(VALU_DEP_1) | instskip(SKIP_1) | instid1(VALU_DEP_1)
	v_add_f64 v[62:63], v[72:73], v[62:63]
	v_fma_f64 v[72:73], v[158:159], s[52:53], v[80:81]
	v_add_f64 v[8:9], v[72:73], v[8:9]
	v_fma_f64 v[72:73], v[156:157], s[0:1], v[82:83]
	s_delay_alu instid0(VALU_DEP_1) | instskip(SKIP_1) | instid1(VALU_DEP_2)
	v_add_f64 v[62:63], v[72:73], v[62:63]
	v_fma_f64 v[72:73], v[162:163], s[44:45], v[84:85]
	v_add_f64 v[172:173], v[2:3], v[62:63]
	s_delay_alu instid0(VALU_DEP_2) | instskip(SKIP_4) | instid1(VALU_DEP_2)
	v_add_f64 v[174:175], v[72:73], v[8:9]
	scratch_load_b64 v[8:9], off, off offset:464 ; 8-byte Folded Reload
	v_fma_f64 v[2:3], v[138:139], s[42:43], v[34:35]
	v_fma_f64 v[34:35], v[142:143], s[24:25], v[219:220]
	s_waitcnt vmcnt(0)
	v_add_f64 v[2:3], v[2:3], v[8:9]
	v_fma_f64 v[8:9], v[136:137], s[38:39], v[249:250]
	s_delay_alu instid0(VALU_DEP_2) | instskip(NEXT) | instid1(VALU_DEP_2)
	v_add_f64 v[2:3], v[34:35], v[2:3]
	v_add_f64 v[8:9], v[8:9], v[235:236]
	v_fma_f64 v[34:35], v[140:141], s[22:23], v[60:61]
	s_delay_alu instid0(VALU_DEP_1) | instskip(SKIP_1) | instid1(VALU_DEP_1)
	v_add_f64 v[8:9], v[34:35], v[8:9]
	v_fma_f64 v[34:35], v[146:147], s[10:11], v[178:179]
	v_add_f64 v[2:3], v[34:35], v[2:3]
	v_fma_f64 v[34:35], v[144:145], s[0:1], v[251:252]
	s_delay_alu instid0(VALU_DEP_1) | instskip(SKIP_1) | instid1(VALU_DEP_1)
	v_add_f64 v[8:9], v[34:35], v[8:9]
	v_fma_f64 v[34:35], v[150:151], s[50:51], v[182:183]
	;; [unrolled: 5-line block ×4, first 2 shown]
	v_add_f64 v[2:3], v[34:35], v[2:3]
	v_fma_f64 v[34:35], v[156:157], s[28:29], v[70:71]
	s_delay_alu instid0(VALU_DEP_1) | instskip(SKIP_1) | instid1(VALU_DEP_2)
	v_add_f64 v[8:9], v[34:35], v[8:9]
	v_fma_f64 v[34:35], v[162:163], s[18:19], v[176:177]
	v_add_f64 v[176:177], v[58:59], v[8:9]
	scratch_load_b64 v[8:9], off, off offset:456 ; 8-byte Folded Reload
	v_add_f64 v[178:179], v[34:35], v[2:3]
	v_fma_f64 v[2:3], v[138:139], s[44:45], v[20:21]
	scratch_load_b64 v[20:21], off, off offset:448 ; 8-byte Folded Reload
	s_waitcnt vmcnt(1)
	v_add_f64 v[2:3], v[2:3], v[8:9]
	v_fma_f64 v[8:9], v[136:137], s[28:29], v[32:33]
	s_waitcnt vmcnt(0)
	s_delay_alu instid0(VALU_DEP_1) | instskip(SKIP_1) | instid1(VALU_DEP_1)
	v_add_f64 v[8:9], v[8:9], v[20:21]
	v_fma_f64 v[20:21], v[142:143], s[40:41], v[36:37]
	v_add_f64 v[2:3], v[20:21], v[2:3]
	v_fma_f64 v[20:21], v[140:141], s[38:39], v[38:39]
	s_delay_alu instid0(VALU_DEP_1) | instskip(SKIP_1) | instid1(VALU_DEP_1)
	v_add_f64 v[8:9], v[20:21], v[8:9]
	v_fma_f64 v[20:21], v[146:147], s[24:25], v[40:41]
	v_add_f64 v[2:3], v[20:21], v[2:3]
	v_fma_f64 v[20:21], v[144:145], s[22:23], v[42:43]
	;; [unrolled: 5-line block ×5, first 2 shown]
	s_delay_alu instid0(VALU_DEP_1) | instskip(SKIP_1) | instid1(VALU_DEP_2)
	v_add_f64 v[8:9], v[20:21], v[8:9]
	v_fma_f64 v[20:21], v[162:163], s[46:47], v[56:57]
	v_add_f64 v[180:181], v[30:31], v[8:9]
	s_delay_alu instid0(VALU_DEP_2)
	v_add_f64 v[182:183], v[20:21], v[2:3]
	v_fma_f64 v[2:3], v[136:137], s[20:21], v[18:19]
	s_clause 0x1
	scratch_load_b64 v[18:19], off, off offset:440
	scratch_load_b64 v[20:21], off, off offset:432
	v_fma_f64 v[8:9], v[142:143], s[44:45], v[22:23]
	s_waitcnt vmcnt(1)
	v_add_f64 v[0:1], v[0:1], v[18:19]
	v_fma_f64 v[18:19], v[140:141], s[28:29], v[221:222]
	s_waitcnt vmcnt(0)
	v_add_f64 v[2:3], v[2:3], v[20:21]
	v_fma_f64 v[20:21], v[146:147], s[42:43], v[223:224]
	s_delay_alu instid0(VALU_DEP_4) | instskip(SKIP_1) | instid1(VALU_DEP_4)
	v_add_f64 v[0:1], v[8:9], v[0:1]
	v_fma_f64 v[8:9], v[144:145], s[38:39], v[225:226]
	v_add_f64 v[2:3], v[18:19], v[2:3]
	v_fma_f64 v[18:19], v[150:151], s[34:35], v[227:228]
	s_delay_alu instid0(VALU_DEP_4) | instskip(SKIP_1) | instid1(VALU_DEP_4)
	v_add_f64 v[0:1], v[20:21], v[0:1]
	v_fma_f64 v[20:21], v[148:149], s[30:31], v[233:234]
	;; [unrolled: 5-line block ×4, first 2 shown]
	v_add_f64 v[2:3], v[18:19], v[2:3]
	v_fma_f64 v[18:19], v[162:163], s[10:11], v[28:29]
	s_delay_alu instid0(VALU_DEP_4) | instskip(NEXT) | instid1(VALU_DEP_3)
	v_add_f64 v[0:1], v[20:21], v[0:1]
	v_add_f64 v[8:9], v[8:9], v[2:3]
	s_delay_alu instid0(VALU_DEP_2) | instskip(NEXT) | instid1(VALU_DEP_2)
	v_add_f64 v[2:3], v[18:19], v[0:1]
	v_add_f64 v[0:1], v[16:17], v[8:9]
	v_lshl_add_u32 v8, v243, 4, v248
	ds_store_b128 v8, v[197:200] offset:256
	ds_store_b128 v8, v[201:204] offset:512
	;; [unrolled: 1-line block ×16, first 2 shown]
.LBB0_5:
	s_or_b32 exec_lo, exec_lo, s33
	v_add_co_u32 v2, s0, s8, v11
	s_delay_alu instid0(VALU_DEP_1) | instskip(SKIP_2) | instid1(VALU_DEP_2)
	v_add_co_ci_u32_e64 v3, null, s9, 0, s0
	s_waitcnt lgkmcnt(0)
	s_waitcnt_vscnt null, 0x0
	v_add_co_u32 v0, s0, 0x1000, v2
	s_delay_alu instid0(VALU_DEP_1)
	v_add_co_ci_u32_e64 v1, s0, 0, v3, s0
	s_barrier
	buffer_gl0_inv
	s_mov_b32 s9, 0x3fe6a09e
	global_load_b128 v[132:135], v[0:1], off offset:256
	v_add_co_u32 v0, s0, 0x1100, v2
	s_delay_alu instid0(VALU_DEP_1)
	v_add_co_ci_u32_e64 v1, s0, 0, v3, s0
	s_mov_b32 s0, 0x667f3bcd
	s_mov_b32 s1, 0xbfe6a09e
	s_clause 0x3
	global_load_b128 v[2:5], v[0:1], off offset:272
	global_load_b128 v[6:9], v[0:1], off offset:544
	;; [unrolled: 1-line block ×4, first 2 shown]
	ds_load_b128 v[140:143], v255
	ds_load_b128 v[144:147], v255 offset:1360
	ds_load_b128 v[164:167], v255 offset:2720
	ds_load_b128 v[168:171], v255 offset:2992
	ds_load_b128 v[172:175], v255 offset:3264
	ds_load_b128 v[176:179], v255 offset:3536
	ds_load_b128 v[180:183], v255 offset:3808
	ds_load_b128 v[184:187], v255 offset:4080
	s_mov_b32 s8, s0
	s_mov_b32 s10, 0xcf328d46
	;; [unrolled: 1-line block ×9, first 2 shown]
	ds_load_b128 v[148:151], v255 offset:1632
	ds_load_b128 v[152:155], v255 offset:1904
	;; [unrolled: 1-line block ×4, first 2 shown]
	s_waitcnt vmcnt(4) lgkmcnt(11)
	v_mul_f64 v[15:16], v[142:143], v[134:135]
	v_mul_f64 v[17:18], v[140:141], v[134:135]
	s_delay_alu instid0(VALU_DEP_2) | instskip(NEXT) | instid1(VALU_DEP_2)
	v_fma_f64 v[140:141], v[140:141], v[132:133], -v[15:16]
	v_fma_f64 v[142:143], v[142:143], v[132:133], v[17:18]
	ds_load_b128 v[132:135], v255 offset:272
	s_waitcnt vmcnt(3) lgkmcnt(0)
	v_mul_f64 v[15:16], v[134:135], v[4:5]
	v_mul_f64 v[4:5], v[132:133], v[4:5]
	s_delay_alu instid0(VALU_DEP_2) | instskip(NEXT) | instid1(VALU_DEP_2)
	v_fma_f64 v[132:133], v[132:133], v[2:3], -v[15:16]
	v_fma_f64 v[134:135], v[134:135], v[2:3], v[4:5]
	ds_load_b128 v[2:5], v255 offset:544
	;; [unrolled: 7-line block ×4, first 2 shown]
	s_waitcnt vmcnt(0) lgkmcnt(0)
	v_mul_f64 v[15:16], v[13:14], v[138:139]
	v_mul_f64 v[17:18], v[11:12], v[138:139]
	s_delay_alu instid0(VALU_DEP_2) | instskip(NEXT) | instid1(VALU_DEP_2)
	v_fma_f64 v[11:12], v[11:12], v[136:137], -v[15:16]
	v_fma_f64 v[13:14], v[13:14], v[136:137], v[17:18]
	global_load_b128 v[136:139], v[0:1], off offset:1360
	s_waitcnt vmcnt(0)
	v_mul_f64 v[15:16], v[146:147], v[138:139]
	v_mul_f64 v[17:18], v[144:145], v[138:139]
	s_delay_alu instid0(VALU_DEP_2) | instskip(NEXT) | instid1(VALU_DEP_2)
	v_fma_f64 v[144:145], v[144:145], v[136:137], -v[15:16]
	v_fma_f64 v[146:147], v[146:147], v[136:137], v[17:18]
	global_load_b128 v[136:139], v[0:1], off offset:1632
	s_waitcnt vmcnt(0)
	v_mul_f64 v[15:16], v[150:151], v[138:139]
	v_mul_f64 v[17:18], v[148:149], v[138:139]
	s_delay_alu instid0(VALU_DEP_2) | instskip(NEXT) | instid1(VALU_DEP_2)
	v_fma_f64 v[148:149], v[148:149], v[136:137], -v[15:16]
	v_fma_f64 v[150:151], v[150:151], v[136:137], v[17:18]
	global_load_b128 v[136:139], v[0:1], off offset:1904
	s_waitcnt vmcnt(0)
	v_mul_f64 v[15:16], v[154:155], v[138:139]
	v_mul_f64 v[17:18], v[152:153], v[138:139]
	s_delay_alu instid0(VALU_DEP_2) | instskip(NEXT) | instid1(VALU_DEP_2)
	v_fma_f64 v[152:153], v[152:153], v[136:137], -v[15:16]
	v_fma_f64 v[154:155], v[154:155], v[136:137], v[17:18]
	global_load_b128 v[136:139], v[0:1], off offset:2176
	s_waitcnt vmcnt(0)
	v_mul_f64 v[15:16], v[158:159], v[138:139]
	v_mul_f64 v[17:18], v[156:157], v[138:139]
	s_delay_alu instid0(VALU_DEP_2) | instskip(NEXT) | instid1(VALU_DEP_2)
	v_fma_f64 v[156:157], v[156:157], v[136:137], -v[15:16]
	v_fma_f64 v[158:159], v[158:159], v[136:137], v[17:18]
	global_load_b128 v[136:139], v[0:1], off offset:2448
	s_waitcnt vmcnt(0)
	v_mul_f64 v[15:16], v[162:163], v[138:139]
	v_mul_f64 v[17:18], v[160:161], v[138:139]
	s_delay_alu instid0(VALU_DEP_2) | instskip(NEXT) | instid1(VALU_DEP_2)
	v_fma_f64 v[160:161], v[160:161], v[136:137], -v[15:16]
	v_fma_f64 v[162:163], v[162:163], v[136:137], v[17:18]
	global_load_b128 v[136:139], v[0:1], off offset:2720
	s_waitcnt vmcnt(0)
	v_mul_f64 v[15:16], v[166:167], v[138:139]
	v_mul_f64 v[17:18], v[164:165], v[138:139]
	s_delay_alu instid0(VALU_DEP_2) | instskip(NEXT) | instid1(VALU_DEP_2)
	v_fma_f64 v[164:165], v[164:165], v[136:137], -v[15:16]
	v_fma_f64 v[166:167], v[166:167], v[136:137], v[17:18]
	global_load_b128 v[136:139], v[0:1], off offset:2992
	s_waitcnt vmcnt(0)
	v_mul_f64 v[15:16], v[170:171], v[138:139]
	v_mul_f64 v[17:18], v[168:169], v[138:139]
	s_delay_alu instid0(VALU_DEP_2) | instskip(NEXT) | instid1(VALU_DEP_2)
	v_fma_f64 v[168:169], v[168:169], v[136:137], -v[15:16]
	v_fma_f64 v[170:171], v[170:171], v[136:137], v[17:18]
	global_load_b128 v[136:139], v[0:1], off offset:3264
	s_waitcnt vmcnt(0)
	v_mul_f64 v[15:16], v[174:175], v[138:139]
	v_mul_f64 v[17:18], v[172:173], v[138:139]
	s_delay_alu instid0(VALU_DEP_2) | instskip(NEXT) | instid1(VALU_DEP_2)
	v_fma_f64 v[172:173], v[172:173], v[136:137], -v[15:16]
	v_fma_f64 v[174:175], v[174:175], v[136:137], v[17:18]
	global_load_b128 v[136:139], v[0:1], off offset:3536
	s_waitcnt vmcnt(0)
	v_mul_f64 v[15:16], v[178:179], v[138:139]
	v_mul_f64 v[17:18], v[176:177], v[138:139]
	s_delay_alu instid0(VALU_DEP_2) | instskip(NEXT) | instid1(VALU_DEP_2)
	v_fma_f64 v[176:177], v[176:177], v[136:137], -v[15:16]
	v_fma_f64 v[178:179], v[178:179], v[136:137], v[17:18]
	global_load_b128 v[136:139], v[0:1], off offset:3808
	s_waitcnt vmcnt(0)
	v_mul_f64 v[15:16], v[182:183], v[138:139]
	v_mul_f64 v[17:18], v[180:181], v[138:139]
	s_delay_alu instid0(VALU_DEP_2) | instskip(NEXT) | instid1(VALU_DEP_2)
	v_fma_f64 v[180:181], v[180:181], v[136:137], -v[15:16]
	v_fma_f64 v[182:183], v[182:183], v[136:137], v[17:18]
	global_load_b128 v[136:139], v[0:1], off offset:4080
	s_waitcnt vmcnt(0)
	v_mul_f64 v[0:1], v[186:187], v[138:139]
	v_mul_f64 v[15:16], v[184:185], v[138:139]
	s_delay_alu instid0(VALU_DEP_2) | instskip(NEXT) | instid1(VALU_DEP_2)
	v_fma_f64 v[184:185], v[184:185], v[136:137], -v[0:1]
	v_fma_f64 v[186:187], v[186:187], v[136:137], v[15:16]
	ds_store_b128 v255, v[140:143]
	ds_store_b128 v255, v[132:135] offset:272
	ds_store_b128 v255, v[2:5] offset:544
	;; [unrolled: 1-line block ×15, first 2 shown]
	s_waitcnt lgkmcnt(0)
	s_barrier
	buffer_gl0_inv
	ds_load_b128 v[0:3], v255 offset:2176
	ds_load_b128 v[4:7], v255
	ds_load_b128 v[11:14], v255 offset:1088
	ds_load_b128 v[132:135], v255 offset:3264
	ds_load_b128 v[136:139], v255 offset:544
	ds_load_b128 v[140:143], v255 offset:2720
	ds_load_b128 v[144:147], v255 offset:1632
	ds_load_b128 v[148:151], v255 offset:3808
	s_waitcnt lgkmcnt(6)
	v_add_f64 v[8:9], v[4:5], -v[0:1]
	v_add_f64 v[15:16], v[6:7], -v[2:3]
	s_waitcnt lgkmcnt(4)
	v_add_f64 v[17:18], v[11:12], -v[132:133]
	v_add_f64 v[19:20], v[13:14], -v[134:135]
	ds_load_b128 v[0:3], v255 offset:272
	ds_load_b128 v[132:135], v255 offset:2448
	s_waitcnt lgkmcnt(4)
	v_add_f64 v[21:22], v[136:137], -v[140:141]
	v_add_f64 v[23:24], v[138:139], -v[142:143]
	s_waitcnt lgkmcnt(2)
	v_add_f64 v[25:26], v[144:145], -v[148:149]
	v_add_f64 v[27:28], v[146:147], -v[150:151]
	;; [unrolled: 3-line block ×3, first 2 shown]
	ds_load_b128 v[132:135], v255 offset:1360
	ds_load_b128 v[140:143], v255 offset:3536
	v_fma_f64 v[4:5], v[4:5], 2.0, -v[8:9]
	v_fma_f64 v[6:7], v[6:7], 2.0, -v[15:16]
	;; [unrolled: 1-line block ×4, first 2 shown]
	v_add_f64 v[19:20], v[8:9], v[19:20]
	v_fma_f64 v[45:46], v[136:137], 2.0, -v[21:22]
	v_fma_f64 v[47:48], v[138:139], 2.0, -v[23:24]
	;; [unrolled: 1-line block ×3, first 2 shown]
	s_waitcnt lgkmcnt(0)
	v_add_f64 v[33:34], v[132:133], -v[140:141]
	v_add_f64 v[35:36], v[134:135], -v[142:143]
	ds_load_b128 v[140:143], v255 offset:816
	ds_load_b128 v[148:151], v255 offset:2992
	v_fma_f64 v[51:52], v[146:147], 2.0, -v[27:28]
	v_add_f64 v[27:28], v[21:22], v[27:28]
	v_add_f64 v[17:18], v[15:16], -v[17:18]
	v_add_f64 v[25:26], v[23:24], -v[25:26]
	v_fma_f64 v[0:1], v[0:1], 2.0, -v[29:30]
	v_fma_f64 v[2:3], v[2:3], 2.0, -v[31:32]
	s_waitcnt lgkmcnt(0)
	v_add_f64 v[37:38], v[140:141], -v[148:149]
	v_add_f64 v[39:40], v[142:143], -v[150:151]
	ds_load_b128 v[148:151], v255 offset:1904
	ds_load_b128 v[152:155], v255 offset:4080
	s_waitcnt lgkmcnt(0)
	s_barrier
	buffer_gl0_inv
	v_add_f64 v[11:12], v[4:5], -v[11:12]
	v_add_f64 v[13:14], v[6:7], -v[13:14]
	v_fma_f64 v[8:9], v[8:9], 2.0, -v[19:20]
	v_add_f64 v[49:50], v[45:46], -v[49:50]
	v_fma_f64 v[53:54], v[132:133], 2.0, -v[33:34]
	v_fma_f64 v[55:56], v[134:135], 2.0, -v[35:36]
	v_add_f64 v[35:36], v[29:30], v[35:36]
	v_add_f64 v[51:52], v[47:48], -v[51:52]
	v_add_f64 v[33:34], v[31:32], -v[33:34]
	v_fma_f64 v[15:16], v[15:16], 2.0, -v[17:18]
	v_add_f64 v[41:42], v[150:151], -v[154:155]
	v_add_f64 v[43:44], v[148:149], -v[152:153]
	v_fma_f64 v[57:58], v[140:141], 2.0, -v[37:38]
	v_fma_f64 v[59:60], v[142:143], 2.0, -v[39:40]
	;; [unrolled: 1-line block ×4, first 2 shown]
	v_add_f64 v[67:68], v[13:14], -v[49:50]
	v_add_f64 v[53:54], v[0:1], -v[53:54]
	;; [unrolled: 1-line block ×3, first 2 shown]
	v_fma_f64 v[29:30], v[29:30], 2.0, -v[35:36]
	v_add_f64 v[65:66], v[11:12], v[51:52]
	v_fma_f64 v[61:62], v[150:151], 2.0, -v[41:42]
	v_fma_f64 v[63:64], v[148:149], 2.0, -v[43:44]
	v_add_f64 v[41:42], v[37:38], v[41:42]
	v_add_f64 v[43:44], v[39:40], -v[43:44]
	v_fma_f64 v[0:1], v[0:1], 2.0, -v[53:54]
	v_fma_f64 v[2:3], v[2:3], 2.0, -v[55:56]
	v_add_f64 v[61:62], v[59:60], -v[61:62]
	v_add_f64 v[63:64], v[57:58], -v[63:64]
	s_delay_alu instid0(VALU_DEP_2) | instskip(NEXT) | instid1(VALU_DEP_2)
	v_add_f64 v[69:70], v[53:54], v[61:62]
	v_add_f64 v[71:72], v[55:56], -v[63:64]
	s_delay_alu instid0(VALU_DEP_2) | instskip(NEXT) | instid1(VALU_DEP_2)
	v_fma_f64 v[73:74], v[69:70], s[8:9], v[65:66]
	v_fma_f64 v[75:76], v[71:72], s[8:9], v[67:68]
	s_delay_alu instid0(VALU_DEP_2) | instskip(NEXT) | instid1(VALU_DEP_2)
	v_fma_f64 v[140:141], v[71:72], s[8:9], v[73:74]
	v_fma_f64 v[142:143], v[69:70], s[0:1], v[75:76]
	v_fma_f64 v[69:70], v[53:54], 2.0, -v[69:70]
	v_fma_f64 v[71:72], v[55:56], 2.0, -v[71:72]
	;; [unrolled: 1-line block ×8, first 2 shown]
	v_fma_f64 v[77:78], v[69:70], s[0:1], v[73:74]
	v_fma_f64 v[79:80], v[71:72], s[0:1], v[75:76]
	v_add_f64 v[11:12], v[0:1], -v[11:12]
	v_add_f64 v[13:14], v[2:3], -v[13:14]
	s_delay_alu instid0(VALU_DEP_4) | instskip(NEXT) | instid1(VALU_DEP_4)
	v_fma_f64 v[148:149], v[71:72], s[8:9], v[77:78]
	v_fma_f64 v[150:151], v[69:70], s[0:1], v[79:80]
	;; [unrolled: 1-line block ×6, first 2 shown]
	v_fma_f64 v[0:1], v[0:1], 2.0, -v[11:12]
	v_fma_f64 v[2:3], v[2:3], 2.0, -v[13:14]
	v_fma_f64 v[184:185], v[73:74], 2.0, -v[148:149]
	v_fma_f64 v[186:187], v[75:76], 2.0, -v[150:151]
	v_fma_f64 v[69:70], v[25:26], s[8:9], v[69:70]
	v_fma_f64 v[71:72], v[27:28], s[0:1], v[71:72]
	;; [unrolled: 1-line block ×4, first 2 shown]
	s_delay_alu instid0(VALU_DEP_2) | instskip(NEXT) | instid1(VALU_DEP_2)
	v_fma_f64 v[81:82], v[77:78], s[16:17], v[69:70]
	v_fma_f64 v[83:84], v[79:80], s[16:17], v[71:72]
	s_delay_alu instid0(VALU_DEP_2) | instskip(NEXT) | instid1(VALU_DEP_2)
	v_fma_f64 v[192:193], v[79:80], s[12:13], v[81:82]
	v_fma_f64 v[194:195], v[77:78], s[14:15], v[83:84]
	v_fma_f64 v[77:78], v[35:36], 2.0, -v[77:78]
	v_fma_f64 v[81:82], v[19:20], 2.0, -v[69:70]
	;; [unrolled: 1-line block ×11, first 2 shown]
	v_fma_f64 v[85:86], v[77:78], s[14:15], v[81:82]
	v_fma_f64 v[25:26], v[35:36], s[0:1], v[29:30]
	v_fma_f64 v[27:28], v[19:20], s[0:1], v[15:16]
	v_fma_f64 v[87:88], v[79:80], s[14:15], v[83:84]
	s_delay_alu instid0(VALU_DEP_4) | instskip(NEXT) | instid1(VALU_DEP_4)
	v_fma_f64 v[156:157], v[79:80], s[16:17], v[85:86]
	v_fma_f64 v[25:26], v[23:24], s[8:9], v[25:26]
	;; [unrolled: 1-line block ×6, first 2 shown]
	v_fma_f64 v[136:137], v[81:82], 2.0, -v[156:157]
	v_fma_f64 v[23:24], v[35:36], s[0:1], v[23:24]
	v_fma_f64 v[15:16], v[15:16], 2.0, -v[27:28]
	v_fma_f64 v[17:18], v[19:20], s[8:9], v[17:18]
	v_fma_f64 v[19:20], v[29:30], 2.0, -v[25:26]
	v_fma_f64 v[138:139], v[83:84], 2.0, -v[158:159]
	v_fma_f64 v[29:30], v[23:24], s[12:13], v[27:28]
	v_fma_f64 v[21:22], v[21:22], 2.0, -v[23:24]
	v_fma_f64 v[31:32], v[25:26], s[12:13], v[17:18]
	v_fma_f64 v[8:9], v[8:9], 2.0, -v[17:18]
	s_delay_alu instid0(VALU_DEP_4) | instskip(NEXT) | instid1(VALU_DEP_4)
	v_fma_f64 v[166:167], v[25:26], s[10:11], v[29:30]
	v_fma_f64 v[25:26], v[21:22], s[10:11], v[15:16]
	s_delay_alu instid0(VALU_DEP_4) | instskip(NEXT) | instid1(VALU_DEP_4)
	v_fma_f64 v[164:165], v[23:24], s[16:17], v[31:32]
	v_fma_f64 v[23:24], v[19:20], s[10:11], v[8:9]
	s_delay_alu instid0(VALU_DEP_4) | instskip(NEXT) | instid1(VALU_DEP_4)
	v_fma_f64 v[154:155], v[27:28], 2.0, -v[166:167]
	v_fma_f64 v[174:175], v[19:20], s[14:15], v[25:26]
	v_fma_f64 v[19:20], v[45:46], 2.0, -v[49:50]
	s_delay_alu instid0(VALU_DEP_4)
	v_fma_f64 v[172:173], v[21:22], s[12:13], v[23:24]
	v_fma_f64 v[21:22], v[47:48], 2.0, -v[51:52]
	v_fma_f64 v[152:153], v[17:18], 2.0, -v[164:165]
	;; [unrolled: 1-line block ×3, first 2 shown]
	v_add_f64 v[19:20], v[4:5], -v[19:20]
	v_fma_f64 v[188:189], v[8:9], 2.0, -v[172:173]
	v_add_f64 v[21:22], v[6:7], -v[21:22]
	s_delay_alu instid0(VALU_DEP_3) | instskip(SKIP_1) | instid1(VALU_DEP_3)
	v_fma_f64 v[4:5], v[4:5], 2.0, -v[19:20]
	v_add_f64 v[176:177], v[19:20], v[13:14]
	v_fma_f64 v[6:7], v[6:7], 2.0, -v[21:22]
	v_add_f64 v[178:179], v[21:22], -v[11:12]
	s_delay_alu instid0(VALU_DEP_4) | instskip(NEXT) | instid1(VALU_DEP_4)
	v_add_f64 v[180:181], v[4:5], -v[0:1]
	v_fma_f64 v[144:145], v[19:20], 2.0, -v[176:177]
	s_delay_alu instid0(VALU_DEP_4) | instskip(NEXT) | instid1(VALU_DEP_4)
	v_add_f64 v[182:183], v[6:7], -v[2:3]
	v_fma_f64 v[146:147], v[21:22], 2.0, -v[178:179]
	s_delay_alu instid0(VALU_DEP_4) | instskip(NEXT) | instid1(VALU_DEP_3)
	v_fma_f64 v[132:133], v[4:5], 2.0, -v[180:181]
	v_fma_f64 v[134:135], v[6:7], 2.0, -v[182:183]
	ds_store_b128 v10, v[140:143] offset:224
	ds_store_b128 v10, v[192:195] offset:240
	;; [unrolled: 1-line block ×14, first 2 shown]
	ds_store_b128 v10, v[132:135]
	ds_store_b128 v10, v[188:191] offset:16
	s_waitcnt lgkmcnt(0)
	s_barrier
	buffer_gl0_inv
	s_and_saveexec_b32 s0, vcc_lo
	s_cbranch_execz .LBB0_7
; %bb.6:
	ds_load_b128 v[132:135], v255
	ds_load_b128 v[188:191], v255 offset:256
	ds_load_b128 v[184:187], v255 offset:512
	;; [unrolled: 1-line block ×16, first 2 shown]
.LBB0_7:
	s_or_b32 exec_lo, exec_lo, s0
	s_and_saveexec_b32 s33, vcc_lo
	s_cbranch_execz .LBB0_9
; %bb.8:
	s_clause 0x3
	scratch_load_b128 v[96:99], off, off offset:384
	scratch_load_b128 v[80:83], off, off offset:352
	scratch_load_b128 v[66:69], off, off offset:336
	scratch_load_b128 v[76:79], off, off offset:320
	s_waitcnt lgkmcnt(15)
	v_mul_f64 v[0:1], v[94:95], v[190:191]
	v_mul_f64 v[4:5], v[94:95], v[188:189]
	s_clause 0x3
	scratch_load_b128 v[108:111], off, off offset:400
	scratch_load_b128 v[56:59], off, off offset:256
	;; [unrolled: 1-line block ×4, first 2 shown]
	s_waitcnt lgkmcnt(0)
	v_mul_f64 v[2:3], v[106:107], v[102:103]
	v_mul_f64 v[6:7], v[106:107], v[100:101]
	;; [unrolled: 1-line block ×8, first 2 shown]
	s_mov_b32 s36, 0xacd6c6b4
	s_mov_b32 s37, 0xbfc7851a
	;; [unrolled: 1-line block ×24, first 2 shown]
	v_fma_f64 v[188:189], v[92:93], v[188:189], v[0:1]
	v_fma_f64 v[190:191], v[92:93], v[190:191], -v[4:5]
	s_mov_b32 s13, 0xbfe348c8
	s_mov_b32 s35, 0x3fe58eea
	;; [unrolled: 1-line block ×4, first 2 shown]
	v_fma_f64 v[90:91], v[104:105], v[100:101], v[2:3]
	v_fma_f64 v[94:95], v[104:105], v[102:103], -v[6:7]
	v_fma_f64 v[106:107], v[120:121], v[180:181], v[10:11]
	v_fma_f64 v[102:103], v[124:125], v[172:173], v[12:13]
	s_mov_b32 s47, 0x3fe0d888
	v_fma_f64 v[104:105], v[124:125], v[174:175], -v[16:17]
	s_mov_b32 s38, s52
	s_mov_b32 s42, s24
	;; [unrolled: 1-line block ×3, first 2 shown]
	v_fma_f64 v[92:93], v[116:117], v[148:149], v[20:21]
	s_mov_b32 s0, 0x3259b75e
	s_mov_b32 s14, 0x75d4884
	s_mov_b32 s1, 0x3fb79ee6
	s_mov_b32 s15, 0x3fe7a5f6
	s_mov_b32 s41, 0xbfd71e95
	s_mov_b32 s45, 0x3fe9895b
	s_mov_b32 s40, s22
	s_mov_b32 s44, s26
	v_dual_mov_b32 v253, v243 :: v_dual_mov_b32 v254, v248
	v_mov_b32_e32 v196, v247
	s_mov_b32 s49, 0xbfeca52d
	s_mov_b32 s48, s20
	;; [unrolled: 1-line block ×4, first 2 shown]
	scratch_load_b128 v[72:75], off, off offset:304 ; 16-byte Folded Reload
	v_add_f64 v[197:198], v[134:135], v[190:191]
	v_add_f64 v[118:119], v[188:189], -v[90:91]
	v_add_f64 v[114:115], v[190:191], -v[94:95]
	v_add_f64 v[128:129], v[94:95], v[190:191]
	v_add_f64 v[112:113], v[90:91], v[188:189]
	;; [unrolled: 1-line block ×3, first 2 shown]
	v_mul_f64 v[12:13], v[118:119], s[36:37]
	v_mul_f64 v[201:202], v[118:119], s[18:19]
	;; [unrolled: 1-line block ×4, first 2 shown]
	s_delay_alu instid0(VALU_DEP_4) | instskip(SKIP_4) | instid1(VALU_DEP_3)
	v_fma_f64 v[203:204], v[128:129], s[28:29], v[12:13]
	v_fma_f64 v[207:208], v[128:129], s[28:29], -v[12:13]
	v_mul_f64 v[12:13], v[118:119], s[26:27]
	v_fma_f64 v[221:222], v[112:113], s[12:13], -v[16:17]
	v_fma_f64 v[16:17], v[112:113], s[12:13], v[16:17]
	v_fma_f64 v[217:218], v[128:129], s[12:13], v[12:13]
	v_fma_f64 v[12:13], v[128:129], s[12:13], -v[12:13]
	s_delay_alu instid0(VALU_DEP_4) | instskip(NEXT) | instid1(VALU_DEP_4)
	v_add_f64 v[247:248], v[132:133], v[221:222]
	v_add_f64 v[16:17], v[132:133], v[16:17]
	s_delay_alu instid0(VALU_DEP_4) | instskip(NEXT) | instid1(VALU_DEP_4)
	v_add_f64 v[217:218], v[134:135], v[217:218]
	v_add_f64 v[12:13], v[134:135], v[12:13]
	s_waitcnt vmcnt(8)
	v_mul_f64 v[4:5], v[98:99], v[160:161]
	s_waitcnt vmcnt(7)
	v_mul_f64 v[28:29], v[82:83], v[194:195]
	;; [unrolled: 2-line block ×3, first 2 shown]
	v_mul_f64 v[30:31], v[68:69], v[184:185]
	v_mul_f64 v[0:1], v[82:83], v[192:193]
	s_clause 0x1
	scratch_load_b128 v[82:85], off, off offset:368
	scratch_load_b128 v[68:71], off, off offset:288
	s_waitcnt vmcnt(6)
	v_mul_f64 v[6:7], v[110:111], v[156:157]
	s_waitcnt vmcnt(5)
	v_mul_f64 v[44:45], v[58:59], v[138:139]
	;; [unrolled: 2-line block ×3, first 2 shown]
	v_mul_f64 v[52:53], v[58:59], v[136:137]
	v_mul_f64 v[54:55], v[62:63], v[140:141]
	s_waitcnt vmcnt(3)
	v_mul_f64 v[18:19], v[88:89], v[170:171]
	v_mul_f64 v[22:23], v[88:89], v[168:169]
	;; [unrolled: 1-line block ×5, first 2 shown]
	v_fma_f64 v[110:111], v[120:121], v[182:183], -v[14:15]
	v_mul_f64 v[14:15], v[114:115], s[36:37]
	v_mul_f64 v[26:27], v[98:99], v[162:163]
	v_fma_f64 v[98:99], v[116:117], v[150:151], -v[24:25]
	v_fma_f64 v[174:175], v[96:97], v[162:163], -v[4:5]
	v_fma_f64 v[64:65], v[80:81], v[192:193], v[28:29]
	v_fma_f64 v[8:9], v[66:67], v[184:185], v[8:9]
	v_fma_f64 v[184:185], v[66:67], v[186:187], -v[30:31]
	v_fma_f64 v[66:67], v[80:81], v[194:195], -v[0:1]
	v_mul_f64 v[194:195], v[114:115], s[18:19]
	v_add_f64 v[80:81], v[102:103], v[106:107]
	v_fma_f64 v[88:89], v[108:109], v[158:159], -v[6:7]
	v_fma_f64 v[10:11], v[56:57], v[136:137], v[44:45]
	v_fma_f64 v[44:45], v[128:129], s[8:9], -v[201:202]
	v_fma_f64 v[122:123], v[86:87], v[168:169], v[18:19]
	v_fma_f64 v[126:127], v[86:87], v[170:171], -v[22:23]
	v_fma_f64 v[86:87], v[108:109], v[156:157], v[2:3]
	v_fma_f64 v[0:1], v[76:77], v[152:153], v[32:33]
	v_fma_f64 v[2:3], v[76:77], v[154:155], -v[36:37]
	v_mul_f64 v[32:33], v[118:119], s[24:25]
	v_fma_f64 v[205:206], v[112:113], s[28:29], -v[14:15]
	v_fma_f64 v[209:210], v[112:113], s[28:29], v[14:15]
	v_fma_f64 v[172:173], v[96:97], v[160:161], v[26:27]
	;; [unrolled: 1-line block ×3, first 2 shown]
	v_add_f64 v[100:101], v[110:111], -v[104:105]
	s_waitcnt vmcnt(2)
	v_mul_f64 v[42:43], v[74:75], v[166:167]
	v_mul_f64 v[50:51], v[74:75], v[164:165]
	v_add_f64 v[168:169], v[66:67], v[184:185]
	v_add_f64 v[120:121], v[174:175], v[88:89]
	;; [unrolled: 1-line block ×3, first 2 shown]
	v_add_f64 v[116:117], v[122:123], -v[92:93]
	v_add_f64 v[124:125], v[126:127], -v[98:99]
	v_add_f64 v[96:97], v[98:99], v[126:127]
	v_add_f64 v[108:109], v[92:93], v[122:123]
	v_fma_f64 v[229:230], v[128:129], s[10:11], v[32:33]
	v_fma_f64 v[32:33], v[128:129], s[10:11], -v[32:33]
	v_add_f64 v[201:202], v[132:133], v[209:210]
	v_add_f64 v[136:137], v[172:173], -v[86:87]
	v_add_f64 v[36:37], v[134:135], v[36:37]
	v_add_f64 v[130:131], v[172:173], v[86:87]
	v_mul_f64 v[20:21], v[100:101], s[52:53]
	v_fma_f64 v[74:75], v[72:73], v[164:165], v[42:43]
	v_fma_f64 v[76:77], v[72:73], v[166:167], -v[50:51]
	v_add_f64 v[166:167], v[64:65], v[8:9]
	v_add_f64 v[72:73], v[104:105], v[110:111]
	v_mul_f64 v[180:181], v[116:117], s[24:25]
	v_mul_f64 v[22:23], v[124:125], s[24:25]
	;; [unrolled: 1-line block ×4, first 2 shown]
	v_add_f64 v[229:230], v[134:135], v[229:230]
	v_add_f64 v[32:33], v[134:135], v[32:33]
	v_mul_f64 v[182:183], v[136:137], s[20:21]
	s_waitcnt vmcnt(1)
	v_mul_f64 v[34:35], v[84:85], v[178:179]
	s_waitcnt vmcnt(0)
	v_mul_f64 v[40:41], v[70:71], v[146:147]
	v_mul_f64 v[48:49], v[70:71], v[144:145]
	;; [unrolled: 1-line block ×3, first 2 shown]
	v_fma_f64 v[70:71], v[60:61], v[140:141], v[46:47]
	v_add_f64 v[84:85], v[106:107], -v[102:103]
	v_fma_f64 v[78:79], v[82:83], v[176:177], v[34:35]
	v_fma_f64 v[4:5], v[68:69], v[144:145], v[40:41]
	v_fma_f64 v[6:7], v[68:69], v[146:147], -v[48:49]
	v_fma_f64 v[176:177], v[56:57], v[138:139], -v[52:53]
	;; [unrolled: 1-line block ×3, first 2 shown]
	v_add_f64 v[146:147], v[8:9], -v[64:65]
	v_add_f64 v[142:143], v[184:185], -v[66:67]
	;; [unrolled: 1-line block ×3, first 2 shown]
	v_fma_f64 v[82:83], v[82:83], v[178:179], -v[38:39]
	v_add_f64 v[162:163], v[70:71], v[10:11]
	v_mul_f64 v[34:35], v[114:115], s[24:25]
	v_fma_f64 v[40:41], v[112:113], s[8:9], -v[194:195]
	v_add_f64 v[48:49], v[134:135], v[203:204]
	v_add_f64 v[56:57], v[132:133], v[205:206]
	;; [unrolled: 1-line block ×3, first 2 shown]
	v_fma_f64 v[194:195], v[112:113], s[8:9], v[194:195]
	v_add_f64 v[184:185], v[184:185], v[197:198]
	v_add_f64 v[8:9], v[8:9], v[188:189]
	v_add_f64 v[138:139], v[174:175], -v[88:89]
	v_mul_f64 v[52:53], v[136:137], s[36:37]
	v_mul_f64 v[207:208], v[124:125], s[34:35]
	;; [unrolled: 1-line block ×4, first 2 shown]
	v_add_f64 v[148:149], v[0:1], -v[78:79]
	v_add_f64 v[156:157], v[4:5], -v[74:75]
	;; [unrolled: 1-line block ×3, first 2 shown]
	v_add_f64 v[152:153], v[76:77], v[6:7]
	v_add_f64 v[170:171], v[176:177], -v[68:69]
	v_mul_f64 v[192:193], v[146:147], s[22:23]
	v_mul_f64 v[199:200], v[142:143], s[22:23]
	v_add_f64 v[160:161], v[68:69], v[176:177]
	v_mul_f64 v[18:19], v[164:165], s[18:19]
	v_mul_f64 v[30:31], v[146:147], s[20:21]
	;; [unrolled: 1-line block ×3, first 2 shown]
	v_add_f64 v[150:151], v[2:3], -v[82:83]
	v_add_f64 v[154:155], v[74:75], v[4:5]
	v_mul_f64 v[205:206], v[164:165], s[38:39]
	v_mul_f64 v[215:216], v[146:147], s[42:43]
	;; [unrolled: 1-line block ×5, first 2 shown]
	v_fma_f64 v[231:232], v[112:113], s[10:11], -v[34:35]
	v_add_f64 v[40:41], v[132:133], v[40:41]
	v_add_f64 v[188:189], v[132:133], v[194:195]
	v_add_f64 v[140:141], v[82:83], v[2:3]
	v_add_f64 v[144:145], v[78:79], v[0:1]
	v_fma_f64 v[34:35], v[112:113], s[10:11], v[34:35]
	v_add_f64 v[176:177], v[176:177], v[184:185]
	v_mul_f64 v[221:222], v[146:147], s[36:37]
	v_add_f64 v[8:9], v[10:11], v[8:9]
	v_fma_f64 v[10:11], v[128:129], s[0:1], v[243:244]
	v_mul_f64 v[24:25], v[138:139], s[20:21]
	v_mul_f64 v[209:210], v[138:139], s[36:37]
	;; [unrolled: 1-line block ×7, first 2 shown]
	v_fma_f64 v[46:47], v[168:169], s[30:31], v[192:193]
	v_fma_f64 v[54:55], v[166:167], s[30:31], -v[199:200]
	v_fma_f64 v[58:59], v[168:169], s[30:31], -v[192:193]
	v_fma_f64 v[199:200], v[166:167], s[30:31], v[199:200]
	v_mul_f64 v[223:224], v[170:171], s[38:39]
	v_fma_f64 v[197:198], v[168:169], s[16:17], v[30:31]
	v_fma_f64 v[233:234], v[166:167], s[16:17], -v[38:39]
	v_fma_f64 v[30:31], v[168:169], s[16:17], -v[30:31]
	v_fma_f64 v[237:238], v[160:161], s[8:9], v[18:19]
	v_fma_f64 v[18:19], v[160:161], s[8:9], -v[18:19]
	v_fma_f64 v[38:39], v[166:167], s[16:17], v[38:39]
	v_mul_f64 v[26:27], v[150:151], s[26:27]
	v_mul_f64 v[213:214], v[158:159], s[44:45]
	;; [unrolled: 1-line block ×3, first 2 shown]
	v_fma_f64 v[194:195], v[168:169], s[10:11], v[215:216]
	v_fma_f64 v[245:246], v[166:167], s[10:11], -v[219:220]
	v_fma_f64 v[215:216], v[168:169], s[10:11], -v[215:216]
	v_fma_f64 v[219:220], v[166:167], s[10:11], v[219:220]
	v_fma_f64 v[249:250], v[168:169], s[8:9], v[225:226]
	v_fma_f64 v[184:185], v[166:167], s[8:9], -v[227:228]
	v_add_f64 v[231:232], v[132:133], v[231:232]
	v_fma_f64 v[225:226], v[168:169], s[8:9], -v[225:226]
	v_mul_f64 v[62:63], v[148:149], s[40:41]
	v_mul_f64 v[211:212], v[150:151], s[40:41]
	v_add_f64 v[34:35], v[132:133], v[34:35]
	v_mul_f64 v[251:252], v[158:159], s[48:49]
	v_add_f64 v[10:11], v[134:135], v[10:11]
	v_add_f64 v[6:7], v[6:7], v[176:177]
	;; [unrolled: 1-line block ×3, first 2 shown]
	v_mul_f64 v[192:193], v[100:101], s[24:25]
	v_fma_f64 v[239:240], v[162:163], s[8:9], -v[42:43]
	v_add_f64 v[46:47], v[46:47], v[48:49]
	v_add_f64 v[54:55], v[54:55], v[56:57]
	;; [unrolled: 1-line block ×3, first 2 shown]
	v_fma_f64 v[42:43], v[162:163], s[8:9], v[42:43]
	v_add_f64 v[60:61], v[199:200], v[201:202]
	v_mul_f64 v[58:59], v[164:165], s[40:41]
	v_mul_f64 v[199:200], v[170:171], s[40:41]
	v_mul_f64 v[201:202], v[164:165], s[34:35]
	v_add_f64 v[36:37], v[197:198], v[36:37]
	v_fma_f64 v[197:198], v[160:161], s[0:1], v[205:206]
	v_add_f64 v[40:41], v[233:234], v[40:41]
	v_fma_f64 v[233:234], v[162:163], s[0:1], -v[223:224]
	v_add_f64 v[30:31], v[30:31], v[44:45]
	v_fma_f64 v[205:206], v[160:161], s[0:1], -v[205:206]
	v_add_f64 v[38:39], v[38:39], v[188:189]
	v_mul_f64 v[188:189], v[158:159], s[18:19]
	v_add_f64 v[194:195], v[194:195], v[217:218]
	v_add_f64 v[12:13], v[215:216], v[12:13]
	;; [unrolled: 1-line block ×5, first 2 shown]
	v_fma_f64 v[231:232], v[162:163], s[14:15], -v[241:242]
	v_add_f64 v[32:33], v[225:226], v[32:33]
	v_fma_f64 v[225:226], v[144:145], s[12:13], -v[26:27]
	v_fma_f64 v[26:27], v[144:145], s[12:13], v[26:27]
	v_mul_f64 v[44:45], v[148:149], s[52:53]
	v_mul_f64 v[219:220], v[164:165], s[42:43]
	;; [unrolled: 1-line block ×3, first 2 shown]
	v_fma_f64 v[8:9], v[144:145], s[30:31], v[211:212]
	v_mul_f64 v[48:49], v[136:137], s[50:51]
	v_add_f64 v[2:3], v[2:3], v[6:7]
	v_add_f64 v[0:1], v[0:1], v[4:5]
	v_fma_f64 v[4:5], v[130:131], s[28:29], v[209:210]
	v_add_f64 v[46:47], v[237:238], v[46:47]
	v_fma_f64 v[237:238], v[152:153], s[14:15], v[14:15]
	v_add_f64 v[54:55], v[239:240], v[54:55]
	v_fma_f64 v[239:240], v[154:155], s[14:15], -v[28:29]
	v_add_f64 v[18:19], v[18:19], v[56:57]
	v_fma_f64 v[14:15], v[152:153], s[14:15], -v[14:15]
	v_add_f64 v[42:43], v[42:43], v[60:61]
	v_fma_f64 v[28:29], v[154:155], s[14:15], v[28:29]
	v_fma_f64 v[60:61], v[162:163], s[0:1], v[223:224]
	v_mul_f64 v[56:57], v[156:157], s[18:19]
	v_fma_f64 v[223:224], v[166:167], s[8:9], v[227:228]
	v_fma_f64 v[217:218], v[160:161], s[30:31], v[58:59]
	v_add_f64 v[227:228], v[245:246], v[247:248]
	v_fma_f64 v[245:246], v[162:163], s[30:31], -v[199:200]
	v_fma_f64 v[58:59], v[160:161], s[30:31], -v[58:59]
	v_mul_f64 v[247:248], v[156:157], s[48:49]
	v_fma_f64 v[199:200], v[162:163], s[30:31], v[199:200]
	v_fma_f64 v[229:230], v[160:161], s[14:15], v[201:202]
	v_add_f64 v[36:37], v[197:198], v[36:37]
	v_fma_f64 v[197:198], v[152:153], s[12:13], v[203:204]
	v_add_f64 v[40:41], v[233:234], v[40:41]
	v_fma_f64 v[233:234], v[154:155], s[12:13], -v[213:214]
	v_add_f64 v[30:31], v[205:206], v[30:31]
	v_fma_f64 v[203:204], v[152:153], s[12:13], -v[203:204]
	v_fma_f64 v[213:214], v[154:155], s[12:13], v[213:214]
	v_add_f64 v[184:185], v[231:232], v[184:185]
	v_fma_f64 v[201:202], v[160:161], s[14:15], -v[201:202]
	v_fma_f64 v[176:177], v[140:141], s[0:1], v[44:45]
	v_fma_f64 v[44:45], v[140:141], s[0:1], -v[44:45]
	v_mul_f64 v[205:206], v[124:125], s[36:37]
	v_add_f64 v[2:3], v[174:175], v[2:3]
	v_add_f64 v[0:1], v[172:173], v[0:1]
	;; [unrolled: 1-line block ×3, first 2 shown]
	v_fma_f64 v[237:238], v[140:141], s[12:13], v[186:187]
	v_add_f64 v[54:55], v[239:240], v[54:55]
	v_fma_f64 v[186:187], v[140:141], s[12:13], -v[186:187]
	v_add_f64 v[14:15], v[14:15], v[18:19]
	v_mul_f64 v[18:19], v[150:151], s[52:53]
	v_add_f64 v[28:29], v[28:29], v[42:43]
	v_add_f64 v[38:39], v[60:61], v[38:39]
	v_fma_f64 v[42:43], v[168:169], s[28:29], v[221:222]
	v_add_f64 v[34:35], v[223:224], v[34:35]
	v_add_f64 v[194:195], v[217:218], v[194:195]
	v_fma_f64 v[223:224], v[152:153], s[8:9], v[56:57]
	v_add_f64 v[227:228], v[245:246], v[227:228]
	v_add_f64 v[12:13], v[58:59], v[12:13]
	v_fma_f64 v[58:59], v[154:155], s[8:9], -v[188:189]
	v_fma_f64 v[56:57], v[152:153], s[8:9], -v[56:57]
	v_add_f64 v[16:17], v[199:200], v[16:17]
	v_mul_f64 v[199:200], v[148:149], s[36:37]
	v_fma_f64 v[188:189], v[154:155], s[8:9], v[188:189]
	v_add_f64 v[229:230], v[229:230], v[215:216]
	v_fma_f64 v[231:232], v[152:153], s[16:17], v[247:248]
	v_add_f64 v[36:37], v[197:198], v[36:37]
	v_add_f64 v[40:41], v[233:234], v[40:41]
	;; [unrolled: 1-line block ×3, first 2 shown]
	v_fma_f64 v[203:204], v[140:141], s[30:31], v[62:63]
	v_fma_f64 v[62:63], v[140:141], s[30:31], -v[62:63]
	v_fma_f64 v[197:198], v[154:155], s[16:17], -v[251:252]
	v_fma_f64 v[233:234], v[120:121], s[16:17], v[182:183]
	v_fma_f64 v[182:183], v[120:121], s[16:17], -v[182:183]
	v_mul_f64 v[239:240], v[138:139], s[50:51]
	v_mul_f64 v[245:246], v[136:137], s[52:53]
	;; [unrolled: 1-line block ×3, first 2 shown]
	v_add_f64 v[32:33], v[201:202], v[32:33]
	v_fma_f64 v[201:202], v[154:155], s[16:17], v[251:252]
	v_mul_f64 v[60:61], v[116:117], s[40:41]
	v_fma_f64 v[221:222], v[168:169], s[28:29], -v[221:222]
	v_mul_f64 v[215:216], v[148:149], s[48:49]
	v_add_f64 v[46:47], v[237:238], v[46:47]
	v_fma_f64 v[237:238], v[162:163], s[14:15], v[241:242]
	v_add_f64 v[54:55], v[225:226], v[54:55]
	v_fma_f64 v[225:226], v[144:145], s[30:31], -v[211:212]
	v_add_f64 v[14:15], v[186:187], v[14:15]
	v_fma_f64 v[186:187], v[130:131], s[16:17], -v[24:25]
	v_fma_f64 v[24:25], v[130:131], s[16:17], v[24:25]
	v_add_f64 v[26:27], v[26:27], v[28:29]
	v_add_f64 v[38:39], v[213:214], v[38:39]
	v_fma_f64 v[28:29], v[160:161], s[10:11], v[219:220]
	v_add_f64 v[10:11], v[42:43], v[10:11]
	v_add_f64 v[194:195], v[223:224], v[194:195]
	v_fma_f64 v[211:212], v[144:145], s[0:1], -v[18:19]
	v_add_f64 v[58:59], v[58:59], v[227:228]
	v_add_f64 v[12:13], v[56:57], v[12:13]
	v_fma_f64 v[18:19], v[144:145], s[0:1], v[18:19]
	v_fma_f64 v[241:242], v[152:153], s[16:17], -v[247:248]
	v_add_f64 v[16:17], v[188:189], v[16:17]
	v_fma_f64 v[188:189], v[140:141], s[28:29], v[199:200]
	v_add_f64 v[227:228], v[231:232], v[229:230]
	v_fma_f64 v[231:232], v[120:121], s[28:29], v[52:53]
	v_fma_f64 v[52:53], v[120:121], s[28:29], -v[52:53]
	v_mul_f64 v[42:43], v[138:139], s[52:53]
	v_add_f64 v[36:37], v[203:204], v[36:37]
	v_fma_f64 v[203:204], v[130:131], s[28:29], -v[209:210]
	v_add_f64 v[30:31], v[62:63], v[30:31]
	v_fma_f64 v[56:57], v[96:97], s[10:11], v[180:181]
	v_fma_f64 v[223:224], v[108:109], s[10:11], -v[22:23]
	v_fma_f64 v[180:181], v[96:97], s[10:11], -v[180:181]
	;; [unrolled: 1-line block ×3, first 2 shown]
	v_add_f64 v[197:198], v[197:198], v[184:185]
	v_fma_f64 v[22:23], v[108:109], s[10:11], v[22:23]
	v_fma_f64 v[6:7], v[152:153], s[30:31], v[217:218]
	v_fma_f64 v[199:200], v[140:141], s[28:29], -v[199:200]
	v_fma_f64 v[184:185], v[72:73], s[0:1], v[178:179]
	v_mul_f64 v[213:214], v[136:137], s[18:19]
	v_mul_f64 v[209:210], v[84:85], s[26:27]
	v_add_f64 v[46:47], v[233:234], v[46:47]
	v_add_f64 v[34:35], v[237:238], v[34:35]
	v_mul_f64 v[233:234], v[114:115], s[40:41]
	v_add_f64 v[40:41], v[225:226], v[40:41]
	v_add_f64 v[14:15], v[182:183], v[14:15]
	;; [unrolled: 1-line block ×3, first 2 shown]
	v_fma_f64 v[182:183], v[80:81], s[0:1], -v[20:21]
	v_add_f64 v[24:25], v[24:25], v[26:27]
	v_add_f64 v[8:9], v[8:9], v[38:39]
	v_fma_f64 v[38:39], v[120:121], s[14:15], v[48:49]
	v_add_f64 v[26:27], v[28:29], v[10:11]
	v_add_f64 v[62:63], v[176:177], v[194:195]
	v_fma_f64 v[194:195], v[130:131], s[14:15], -v[239:240]
	v_add_f64 v[58:59], v[211:212], v[58:59]
	v_fma_f64 v[48:49], v[120:121], s[14:15], -v[48:49]
	v_add_f64 v[12:13], v[44:45], v[12:13]
	v_fma_f64 v[44:45], v[130:131], s[14:15], v[239:240]
	v_add_f64 v[16:17], v[18:19], v[16:17]
	v_fma_f64 v[18:19], v[120:121], s[0:1], v[245:246]
	v_add_f64 v[211:212], v[188:189], v[227:228]
	v_fma_f64 v[227:228], v[96:97], s[14:15], v[50:51]
	v_add_f64 v[32:33], v[241:242], v[32:33]
	v_fma_f64 v[176:177], v[80:81], s[0:1], v[20:21]
	v_add_f64 v[36:37], v[231:232], v[36:37]
	v_fma_f64 v[20:21], v[144:145], s[28:29], v[249:250]
	v_fma_f64 v[50:51], v[96:97], s[14:15], -v[50:51]
	v_add_f64 v[30:31], v[52:53], v[30:31]
	v_mul_f64 v[28:29], v[124:125], s[40:41]
	v_fma_f64 v[10:11], v[72:73], s[0:1], -v[178:179]
	v_fma_f64 v[225:226], v[130:131], s[0:1], -v[42:43]
	v_add_f64 v[197:198], v[229:230], v[197:198]
	v_fma_f64 v[52:53], v[108:109], s[28:29], -v[205:206]
	v_add_f64 v[231:232], v[122:123], v[0:1]
	v_mul_f64 v[237:238], v[164:165], s[26:27]
	v_fma_f64 v[229:230], v[120:121], s[8:9], v[213:214]
	v_add_f64 v[188:189], v[56:57], v[46:47]
	v_add_f64 v[34:35], v[201:202], v[34:35]
	v_fma_f64 v[201:202], v[108:109], s[14:15], -v[207:208]
	v_add_f64 v[40:41], v[203:204], v[40:41]
	v_add_f64 v[178:179], v[180:181], v[14:15]
	;; [unrolled: 1-line block ×3, first 2 shown]
	v_mul_f64 v[46:47], v[100:101], s[20:21]
	v_add_f64 v[180:181], v[22:23], v[24:25]
	v_fma_f64 v[22:23], v[108:109], s[14:15], v[207:208]
	v_add_f64 v[4:5], v[4:5], v[8:9]
	v_add_f64 v[6:7], v[6:7], v[26:27]
	v_mul_f64 v[24:25], v[84:85], s[20:21]
	v_fma_f64 v[26:27], v[96:97], s[28:29], v[235:236]
	v_add_f64 v[38:39], v[38:39], v[62:63]
	v_add_f64 v[54:55], v[194:195], v[58:59]
	v_fma_f64 v[56:57], v[96:97], s[28:29], -v[235:236]
	v_add_f64 v[12:13], v[48:49], v[12:13]
	v_fma_f64 v[48:49], v[108:109], s[28:29], v[205:206]
	v_mul_f64 v[58:59], v[114:115], s[38:39]
	v_add_f64 v[16:17], v[44:45], v[16:17]
	v_fma_f64 v[44:45], v[96:97], s[30:31], v[60:61]
	v_add_f64 v[18:19], v[18:19], v[211:212]
	v_add_f64 v[32:33], v[199:200], v[32:33]
	;; [unrolled: 1-line block ×3, first 2 shown]
	v_fma_f64 v[36:37], v[130:131], s[0:1], v[42:43]
	v_mul_f64 v[42:43], v[118:119], s[48:49]
	v_add_f64 v[199:200], v[50:51], v[30:31]
	v_add_f64 v[50:51], v[126:127], v[2:3]
	v_mul_f64 v[227:228], v[118:119], s[40:41]
	v_fma_f64 v[62:63], v[108:109], s[30:31], -v[28:29]
	v_add_f64 v[223:224], v[225:226], v[197:198]
	v_fma_f64 v[225:226], v[120:121], s[0:1], -v[245:246]
	v_fma_f64 v[8:9], v[72:73], s[10:11], v[190:191]
	v_fma_f64 v[205:206], v[80:81], s[10:11], -v[192:193]
	v_fma_f64 v[197:198], v[72:73], s[10:11], -v[190:191]
	v_add_f64 v[106:107], v[106:107], v[231:232]
	v_mul_f64 v[30:31], v[116:117], s[44:45]
	v_mul_f64 v[231:232], v[170:171], s[42:43]
	v_fma_f64 v[14:15], v[140:141], s[16:17], v[215:216]
	v_add_f64 v[20:21], v[20:21], v[34:35]
	v_mul_f64 v[34:35], v[118:119], s[50:51]
	v_add_f64 v[207:208], v[201:202], v[40:41]
	v_mul_f64 v[40:41], v[114:115], s[50:51]
	v_fma_f64 v[201:202], v[80:81], s[10:11], v[192:193]
	v_fma_f64 v[122:123], v[80:81], s[16:17], -v[46:47]
	v_fma_f64 v[0:1], v[80:81], s[16:17], v[46:47]
	v_mul_f64 v[211:212], v[100:101], s[26:27]
	v_add_f64 v[203:204], v[22:23], v[4:5]
	v_mul_f64 v[22:23], v[114:115], s[48:49]
	v_fma_f64 v[126:127], v[72:73], s[16:17], v[24:25]
	v_fma_f64 v[190:191], v[72:73], s[16:17], -v[24:25]
	v_add_f64 v[192:193], v[26:27], v[38:39]
	v_add_f64 v[174:175], v[52:53], v[54:55]
	v_mul_f64 v[24:25], v[142:143], s[36:37]
	v_add_f64 v[194:195], v[56:57], v[12:13]
	v_mul_f64 v[38:39], v[146:147], s[26:27]
	v_fma_f64 v[12:13], v[112:113], s[0:1], -v[58:59]
	v_add_f64 v[2:3], v[48:49], v[16:17]
	v_fma_f64 v[16:17], v[128:129], s[0:1], -v[243:244]
	v_add_f64 v[4:5], v[44:45], v[18:19]
	v_mul_f64 v[48:49], v[142:143], s[38:39]
	v_fma_f64 v[18:19], v[96:97], s[30:31], -v[60:61]
	v_mul_f64 v[54:55], v[146:147], s[50:51]
	v_fma_f64 v[44:45], v[128:129], s[16:17], -v[42:43]
	v_mul_f64 v[60:61], v[142:143], s[26:27]
	v_add_f64 v[50:51], v[110:111], v[50:51]
	v_fma_f64 v[56:57], v[128:129], s[30:31], -v[227:228]
	v_mul_f64 v[110:111], v[142:143], s[50:51]
	v_fma_f64 v[142:143], v[112:113], s[30:31], v[233:234]
	v_add_f64 v[118:119], v[62:63], v[223:224]
	v_fma_f64 v[26:27], v[112:113], s[0:1], v[58:59]
	v_fma_f64 v[42:43], v[128:129], s[16:17], v[42:43]
	v_add_f64 v[32:33], v[225:226], v[32:33]
	v_mul_f64 v[225:226], v[124:125], s[44:45]
	s_mov_b32 s45, 0x3fc7851a
	s_mov_b32 s44, s36
	v_add_f64 v[102:103], v[102:103], v[106:107]
	v_add_f64 v[20:21], v[36:37], v[20:21]
	v_mul_f64 v[36:37], v[146:147], s[38:39]
	v_fma_f64 v[46:47], v[128:129], s[14:15], -v[34:35]
	v_fma_f64 v[52:53], v[112:113], s[14:15], v[40:41]
	v_fma_f64 v[34:35], v[128:129], s[14:15], v[34:35]
	v_fma_f64 v[40:41], v[112:113], s[14:15], -v[40:41]
	v_fma_f64 v[128:129], v[128:129], s[30:31], v[227:228]
	v_mul_f64 v[227:228], v[164:165], s[44:45]
	v_mul_f64 v[245:246], v[170:171], s[44:45]
	v_fma_f64 v[223:224], v[112:113], s[16:17], v[22:23]
	v_fma_f64 v[22:23], v[112:113], s[16:17], -v[22:23]
	v_fma_f64 v[112:113], v[112:113], s[30:31], -v[233:234]
	v_add_f64 v[14:15], v[14:15], v[6:7]
	v_fma_f64 v[28:29], v[108:109], s[30:31], v[28:29]
	v_fma_f64 v[235:236], v[166:167], s[28:29], -v[24:25]
	v_fma_f64 v[24:25], v[166:167], s[28:29], v[24:25]
	v_fma_f64 v[233:234], v[168:169], s[12:13], v[38:39]
	v_add_f64 v[12:13], v[132:133], v[12:13]
	v_fma_f64 v[38:39], v[168:169], s[12:13], -v[38:39]
	v_add_f64 v[16:17], v[134:135], v[16:17]
	v_mul_f64 v[58:59], v[84:85], s[34:35]
	v_fma_f64 v[241:242], v[166:167], s[0:1], v[48:49]
	v_fma_f64 v[48:49], v[166:167], s[0:1], -v[48:49]
	v_fma_f64 v[243:244], v[168:169], s[14:15], -v[54:55]
	v_add_f64 v[44:45], v[134:135], v[44:45]
	v_fma_f64 v[247:248], v[166:167], s[12:13], v[60:61]
	v_add_f64 v[50:51], v[104:105], v[50:51]
	v_add_f64 v[56:57], v[134:135], v[56:57]
	v_mul_f64 v[104:105], v[164:165], s[48:49]
	v_mul_f64 v[164:165], v[170:171], s[48:49]
	v_fma_f64 v[106:107], v[166:167], s[14:15], v[110:111]
	v_add_f64 v[142:143], v[132:133], v[142:143]
	v_mul_f64 v[170:171], v[170:171], s[26:27]
	v_add_f64 v[26:27], v[132:133], v[26:27]
	v_add_f64 v[42:43], v[134:135], v[42:43]
	v_fma_f64 v[60:61], v[166:167], s[12:13], -v[60:61]
	v_fma_f64 v[54:55], v[168:169], s[14:15], v[54:55]
	v_fma_f64 v[110:111], v[166:167], s[14:15], -v[110:111]
	v_fma_f64 v[166:167], v[160:161], s[10:11], -v[219:220]
	;; [unrolled: 1-line block ×3, first 2 shown]
	v_add_f64 v[46:47], v[134:135], v[46:47]
	v_add_f64 v[52:53], v[132:133], v[52:53]
	v_fma_f64 v[36:37], v[168:169], s[0:1], v[36:37]
	v_add_f64 v[34:35], v[134:135], v[34:35]
	v_add_f64 v[40:41], v[132:133], v[40:41]
	;; [unrolled: 1-line block ×7, first 2 shown]
	v_mul_f64 v[134:135], v[158:159], s[22:23]
	v_fma_f64 v[132:133], v[162:163], s[10:11], -v[231:232]
	v_fma_f64 v[219:220], v[162:163], s[10:11], v[231:232]
	v_mul_f64 v[231:232], v[158:159], s[42:43]
	v_mul_f64 v[168:169], v[150:151], s[48:49]
	v_add_f64 v[12:13], v[235:236], v[12:13]
	v_fma_f64 v[235:236], v[160:161], s[28:29], -v[227:228]
	v_add_f64 v[16:17], v[221:222], v[16:17]
	v_mul_f64 v[221:222], v[156:157], s[42:43]
	v_add_f64 v[14:15], v[229:230], v[14:15]
	v_mul_f64 v[229:230], v[138:139], s[18:19]
	v_mul_f64 v[146:147], v[100:101], s[34:35]
	v_add_f64 v[38:39], v[38:39], v[44:45]
	v_mul_f64 v[44:45], v[156:157], s[36:37]
	v_add_f64 v[50:51], v[98:99], v[50:51]
	v_add_f64 v[56:57], v[243:244], v[56:57]
	v_mul_f64 v[156:157], v[156:157], s[38:39]
	v_fma_f64 v[98:99], v[160:161], s[16:17], -v[104:105]
	v_fma_f64 v[102:103], v[162:163], s[16:17], v[164:165]
	v_add_f64 v[106:107], v[106:107], v[142:143]
	v_fma_f64 v[142:143], v[162:163], s[12:13], v[170:171]
	v_fma_f64 v[243:244], v[162:163], s[28:29], v[245:246]
	v_add_f64 v[24:25], v[24:25], v[26:27]
	v_fma_f64 v[26:27], v[160:161], s[28:29], v[227:228]
	v_add_f64 v[42:43], v[233:234], v[42:43]
	v_fma_f64 v[227:228], v[162:163], s[28:29], -v[245:246]
	v_fma_f64 v[62:63], v[96:97], s[12:13], v[30:31]
	v_fma_f64 v[30:31], v[96:97], s[12:13], -v[30:31]
	v_add_f64 v[46:47], v[239:240], v[46:47]
	v_add_f64 v[52:53], v[241:242], v[52:53]
	v_fma_f64 v[241:242], v[160:161], s[12:13], -v[237:238]
	v_mul_f64 v[239:240], v[158:159], s[36:37]
	v_mul_f64 v[158:159], v[158:159], s[38:39]
	v_add_f64 v[34:35], v[36:37], v[34:35]
	v_fma_f64 v[36:37], v[162:163], s[12:13], -v[170:171]
	v_add_f64 v[223:224], v[247:248], v[223:224]
	v_add_f64 v[22:23], v[60:61], v[22:23]
	v_fma_f64 v[60:61], v[160:161], s[12:13], v[237:238]
	v_add_f64 v[40:41], v[48:49], v[40:41]
	v_fma_f64 v[48:49], v[160:161], s[16:17], v[104:105]
	v_add_f64 v[54:55], v[54:55], v[128:129]
	v_fma_f64 v[104:105], v[162:163], s[16:17], -v[164:165]
	v_add_f64 v[110:111], v[110:111], v[112:113]
	v_fma_f64 v[128:129], v[152:153], s[30:31], -v[217:218]
	v_add_f64 v[86:87], v[86:87], v[92:93]
	v_add_f64 v[16:17], v[166:167], v[16:17]
	v_fma_f64 v[162:163], v[152:153], s[10:11], -v[221:222]
	v_mul_f64 v[166:167], v[148:149], s[46:47]
	v_fma_f64 v[112:113], v[154:155], s[30:31], -v[134:135]
	v_add_f64 v[12:13], v[132:133], v[12:13]
	v_add_f64 v[38:39], v[235:236], v[38:39]
	v_fma_f64 v[217:218], v[152:153], s[28:29], -v[44:45]
	v_add_f64 v[50:51], v[88:89], v[50:51]
	v_fma_f64 v[132:133], v[154:155], s[30:31], v[134:135]
	v_mul_f64 v[134:135], v[148:149], s[34:35]
	v_mul_f64 v[160:161], v[150:151], s[34:35]
	;; [unrolled: 1-line block ×5, first 2 shown]
	v_fma_f64 v[235:236], v[152:153], s[0:1], -v[156:157]
	v_add_f64 v[56:57], v[98:99], v[56:57]
	v_add_f64 v[88:89], v[102:103], v[106:107]
	v_fma_f64 v[164:165], v[154:155], s[10:11], v[231:232]
	v_add_f64 v[24:25], v[219:220], v[24:25]
	v_fma_f64 v[102:103], v[152:153], s[10:11], v[221:222]
	v_add_f64 v[26:27], v[26:27], v[42:43]
	v_fma_f64 v[42:43], v[154:155], s[10:11], -v[231:232]
	v_add_f64 v[52:53], v[142:143], v[52:53]
	v_add_f64 v[46:47], v[241:242], v[46:47]
	v_fma_f64 v[233:234], v[154:155], s[28:29], v[239:240]
	v_fma_f64 v[98:99], v[154:155], s[0:1], v[158:159]
	;; [unrolled: 1-line block ×3, first 2 shown]
	v_fma_f64 v[106:107], v[144:145], s[16:17], -v[168:169]
	v_add_f64 v[92:93], v[243:244], v[223:224]
	v_add_f64 v[22:23], v[227:228], v[22:23]
	;; [unrolled: 1-line block ×3, first 2 shown]
	v_fma_f64 v[60:61], v[154:155], s[28:29], -v[239:240]
	v_add_f64 v[36:37], v[36:37], v[40:41]
	v_fma_f64 v[40:41], v[152:153], s[0:1], v[156:157]
	v_add_f64 v[48:49], v[48:49], v[54:55]
	v_fma_f64 v[54:55], v[154:155], s[0:1], -v[158:159]
	v_add_f64 v[104:105], v[104:105], v[110:111]
	v_mul_f64 v[156:157], v[136:137], s[42:43]
	v_add_f64 v[78:79], v[78:79], v[86:87]
	v_fma_f64 v[110:111], v[140:141], s[16:17], -v[215:216]
	v_add_f64 v[16:17], v[128:129], v[16:17]
	v_mul_f64 v[128:129], v[136:137], s[40:41]
	v_add_f64 v[12:13], v[112:113], v[12:13]
	v_add_f64 v[38:39], v[162:163], v[38:39]
	v_fma_f64 v[162:163], v[140:141], s[8:9], -v[166:167]
	v_add_f64 v[50:51], v[82:83], v[50:51]
	v_mul_f64 v[142:143], v[138:139], s[40:41]
	v_fma_f64 v[152:153], v[140:141], s[14:15], -v[134:135]
	v_mul_f64 v[158:159], v[138:139], s[42:43]
	v_mul_f64 v[136:137], v[136:137], s[26:27]
	;; [unrolled: 1-line block ×3, first 2 shown]
	v_fma_f64 v[215:216], v[140:141], s[10:11], -v[148:149]
	v_fma_f64 v[112:113], v[144:145], s[16:17], v[168:169]
	v_add_f64 v[56:57], v[235:236], v[56:57]
	v_fma_f64 v[168:169], v[144:145], s[8:9], v[170:171]
	v_fma_f64 v[154:155], v[144:145], s[14:15], v[160:161]
	v_add_f64 v[24:25], v[132:133], v[24:25]
	v_add_f64 v[18:19], v[18:19], v[32:33]
	;; [unrolled: 1-line block ×3, first 2 shown]
	v_fma_f64 v[102:103], v[120:121], s[8:9], -v[213:214]
	v_fma_f64 v[114:115], v[72:73], s[12:13], v[209:210]
	v_add_f64 v[46:47], v[217:218], v[46:47]
	v_fma_f64 v[217:218], v[144:145], s[10:11], v[150:151]
	v_add_f64 v[82:83], v[98:99], v[88:89]
	v_add_f64 v[52:53], v[233:234], v[52:53]
	v_fma_f64 v[88:89], v[140:141], s[14:15], v[134:135]
	v_add_f64 v[86:87], v[164:165], v[92:93]
	v_fma_f64 v[92:93], v[144:145], s[14:15], -v[160:161]
	v_add_f64 v[22:23], v[42:43], v[22:23]
	v_fma_f64 v[42:43], v[140:141], s[8:9], v[166:167]
	v_add_f64 v[34:35], v[44:45], v[34:35]
	v_fma_f64 v[44:45], v[144:145], s[8:9], -v[170:171]
	;; [unrolled: 4-line block ×3, first 2 shown]
	v_add_f64 v[54:55], v[54:55], v[104:105]
	v_mul_f64 v[140:141], v[116:117], s[20:21]
	v_fma_f64 v[148:149], v[120:121], s[10:11], -v[156:157]
	v_add_f64 v[74:75], v[74:75], v[78:79]
	v_fma_f64 v[98:99], v[130:131], s[8:9], -v[229:230]
	v_add_f64 v[12:13], v[106:107], v[12:13]
	v_add_f64 v[16:17], v[110:111], v[16:17]
	;; [unrolled: 1-line block ×3, first 2 shown]
	v_mul_f64 v[106:107], v[116:117], s[38:39]
	v_mul_f64 v[110:111], v[124:125], s[38:39]
	v_fma_f64 v[132:133], v[120:121], s[30:31], -v[128:129]
	v_add_f64 v[38:39], v[152:153], v[38:39]
	v_mul_f64 v[144:145], v[124:125], s[20:21]
	v_mul_f64 v[116:117], v[116:117], s[18:19]
	;; [unrolled: 1-line block ×3, first 2 shown]
	v_fma_f64 v[152:153], v[120:121], s[12:13], -v[136:137]
	v_add_f64 v[56:57], v[215:216], v[56:57]
	v_fma_f64 v[160:161], v[130:131], s[12:13], v[138:139]
	v_fma_f64 v[150:151], v[130:131], s[10:11], v[158:159]
	;; [unrolled: 1-line block ×4, first 2 shown]
	v_add_f64 v[24:25], v[112:113], v[24:25]
	v_fma_f64 v[6:7], v[80:81], s[12:13], -v[211:212]
	v_add_f64 v[46:47], v[162:163], v[46:47]
	v_fma_f64 v[112:113], v[80:81], s[14:15], -v[146:147]
	v_add_f64 v[76:77], v[217:218], v[82:83]
	v_add_f64 v[52:53], v[168:169], v[52:53]
	v_fma_f64 v[82:83], v[120:121], s[30:31], v[128:129]
	v_add_f64 v[78:79], v[154:155], v[86:87]
	v_add_f64 v[26:27], v[88:89], v[26:27]
	v_fma_f64 v[86:87], v[130:131], s[30:31], -v[142:143]
	v_add_f64 v[22:23], v[92:93], v[22:23]
	v_fma_f64 v[88:89], v[120:121], s[10:11], v[156:157]
	v_add_f64 v[34:35], v[42:43], v[34:35]
	v_fma_f64 v[42:43], v[130:131], s[10:11], -v[158:159]
	v_add_f64 v[36:37], v[44:45], v[36:37]
	v_fma_f64 v[44:45], v[120:121], s[12:13], v[136:137]
	v_add_f64 v[40:41], v[60:61], v[40:41]
	v_fma_f64 v[60:61], v[130:131], s[12:13], -v[138:139]
	v_add_f64 v[48:49], v[48:49], v[54:55]
	v_fma_f64 v[136:137], v[96:97], s[16:17], -v[140:141]
	v_mul_f64 v[154:155], v[100:101], s[18:19]
	v_mul_f64 v[156:157], v[84:85], s[22:23]
	v_add_f64 v[12:13], v[98:99], v[12:13]
	v_add_f64 v[16:17], v[102:103], v[16:17]
	;; [unrolled: 1-line block ×4, first 2 shown]
	v_mul_f64 v[98:99], v[84:85], s[18:19]
	v_fma_f64 v[102:103], v[96:97], s[0:1], -v[106:107]
	v_add_f64 v[38:39], v[132:133], v[38:39]
	v_mul_f64 v[158:159], v[100:101], s[22:23]
	v_mul_f64 v[84:85], v[84:85], s[36:37]
	v_fma_f64 v[142:143], v[108:109], s[8:9], v[124:125]
	v_fma_f64 v[138:139], v[108:109], s[16:17], v[144:145]
	v_add_f64 v[56:57], v[152:153], v[56:57]
	v_fma_f64 v[130:131], v[108:109], s[0:1], v[110:111]
	v_fma_f64 v[54:55], v[108:109], s[12:13], -v[225:226]
	v_fma_f64 v[92:93], v[108:109], s[12:13], v[225:226]
	v_fma_f64 v[128:129], v[80:81], s[14:15], v[146:147]
	v_add_f64 v[24:25], v[104:105], v[24:25]
	v_fma_f64 v[120:121], v[80:81], s[12:13], v[211:212]
	v_add_f64 v[46:47], v[148:149], v[46:47]
	v_mul_f64 v[148:149], v[100:101], s[36:37]
	v_fma_f64 v[100:101], v[96:97], s[8:9], -v[116:117]
	v_add_f64 v[70:71], v[160:161], v[76:77]
	v_add_f64 v[52:53], v[150:151], v[52:53]
	;; [unrolled: 1-line block ×3, first 2 shown]
	v_fma_f64 v[76:77], v[96:97], s[0:1], v[106:107]
	v_add_f64 v[26:27], v[82:83], v[26:27]
	v_fma_f64 v[78:79], v[108:109], s[0:1], -v[110:111]
	v_add_f64 v[22:23], v[86:87], v[22:23]
	v_fma_f64 v[82:83], v[96:97], s[16:17], v[140:141]
	v_add_f64 v[34:35], v[88:89], v[34:35]
	v_fma_f64 v[86:87], v[108:109], s[16:17], -v[144:145]
	v_add_f64 v[36:37], v[42:43], v[36:37]
	;; [unrolled: 4-line block ×3, first 2 shown]
	v_add_f64 v[124:125], v[28:29], v[20:21]
	v_fma_f64 v[132:133], v[80:81], s[8:9], v[154:155]
	v_fma_f64 v[60:61], v[72:73], s[12:13], -v[209:210]
	v_add_f64 v[16:17], v[30:31], v[16:17]
	v_fma_f64 v[30:31], v[72:73], s[30:31], -v[156:157]
	v_fma_f64 v[108:109], v[72:73], s[14:15], v[58:59]
	v_fma_f64 v[20:21], v[72:73], s[8:9], -v[98:99]
	v_add_f64 v[110:111], v[62:63], v[14:15]
	v_add_f64 v[28:29], v[102:103], v[38:39]
	v_fma_f64 v[104:105], v[80:81], s[8:9], -v[154:155]
	v_fma_f64 v[144:145], v[72:73], s[28:29], -v[84:85]
	v_fma_f64 v[88:89], v[72:73], s[30:31], v[156:157]
	v_fma_f64 v[96:97], v[80:81], s[30:31], -v[158:159]
	v_add_f64 v[14:15], v[190:191], v[194:195]
	v_mov_b32_e32 v243, v253
	v_add_f64 v[116:117], v[54:55], v[12:13]
	v_fma_f64 v[12:13], v[72:73], s[14:15], -v[58:59]
	v_mov_b32_e32 v247, v196
	v_add_f64 v[32:33], v[136:137], v[46:47]
	v_add_f64 v[46:47], v[66:67], v[50:51]
	;; [unrolled: 1-line block ×4, first 2 shown]
	v_fma_f64 v[140:141], v[80:81], s[28:29], v[148:149]
	v_add_f64 v[142:143], v[142:143], v[70:71]
	v_fma_f64 v[136:137], v[80:81], s[30:31], v[158:159]
	v_add_f64 v[138:139], v[138:139], v[52:53]
	v_add_f64 v[134:135], v[130:131], v[74:75]
	;; [unrolled: 1-line block ×3, first 2 shown]
	v_fma_f64 v[100:101], v[72:73], s[8:9], v[98:99]
	v_add_f64 v[102:103], v[76:77], v[26:27]
	v_add_f64 v[106:107], v[78:79], v[22:23]
	v_add_f64 v[92:93], v[82:83], v[34:35]
	v_add_f64 v[98:99], v[86:87], v[36:37]
	v_fma_f64 v[82:83], v[72:73], s[28:29], v[84:85]
	v_add_f64 v[84:85], v[42:43], v[40:41]
	v_fma_f64 v[80:81], v[80:81], s[28:29], -v[148:149]
	v_add_f64 v[86:87], v[44:45], v[48:49]
	v_add_f64 v[74:75], v[8:9], v[172:173]
	;; [unrolled: 1-line block ×28, first 2 shown]
	v_lshl_add_u32 v16, v243, 4, v254
	v_add_f64 v[102:103], v[100:101], v[102:103]
	v_add_f64 v[100:101], v[104:105], v[106:107]
	;; [unrolled: 1-line block ×6, first 2 shown]
	ds_store_b128 v255, v[160:163]
	ds_store_b128 v16, v[156:159] offset:256
	ds_store_b128 v16, v[152:155] offset:512
	;; [unrolled: 1-line block ×16, first 2 shown]
.LBB0_9:
	s_or_b32 exec_lo, exec_lo, s33
	s_waitcnt lgkmcnt(0)
	s_barrier
	buffer_gl0_inv
	ds_load_b128 v[0:3], v255
	ds_load_b128 v[4:7], v255 offset:272
	ds_load_b128 v[8:11], v255 offset:544
	;; [unrolled: 1-line block ×5, first 2 shown]
	scratch_load_b128 v[44:47], off, off    ; 16-byte Folded Reload
	v_mad_u64_u32 v[36:37], null, s6, v247, 0
	v_mad_u64_u32 v[38:39], null, s4, v243, 0
	s_mov_b32 s0, 0x1e1e1e1e
	s_mov_b32 s1, 0x3f6e1e1e
	s_mul_i32 s6, s5, 0x110
	s_mul_hi_u32 s8, s4, 0x110
	s_mulk_i32 s4, 0x110
	s_add_i32 s8, s8, s6
	s_delay_alu instid0(VALU_DEP_1) | instskip(NEXT) | instid1(VALU_DEP_1)
	v_mad_u64_u32 v[40:41], null, s7, v247, v[37:38]
	v_mad_u64_u32 v[41:42], null, s5, v243, v[39:40]
	v_mov_b32_e32 v37, v40
	s_delay_alu instid0(VALU_DEP_1) | instskip(NEXT) | instid1(VALU_DEP_3)
	v_lshlrev_b64 v[36:37], 4, v[36:37]
	v_mov_b32_e32 v39, v41
	s_delay_alu instid0(VALU_DEP_1) | instskip(NEXT) | instid1(VALU_DEP_3)
	v_lshlrev_b64 v[38:39], 4, v[38:39]
	v_add_co_u32 v36, vcc_lo, s2, v36
	s_delay_alu instid0(VALU_DEP_4) | instskip(NEXT) | instid1(VALU_DEP_2)
	v_add_co_ci_u32_e32 v37, vcc_lo, s3, v37, vcc_lo
	v_add_co_u32 v36, vcc_lo, v36, v38
	s_delay_alu instid0(VALU_DEP_2)
	v_add_co_ci_u32_e32 v37, vcc_lo, v37, v39, vcc_lo
	s_waitcnt vmcnt(0) lgkmcnt(5)
	v_mul_f64 v[16:17], v[46:47], v[2:3]
	v_mul_f64 v[18:19], v[46:47], v[0:1]
	scratch_load_b128 v[46:49], off, off offset:16 ; 16-byte Folded Reload
	v_fma_f64 v[0:1], v[44:45], v[0:1], v[16:17]
	v_fma_f64 v[2:3], v[44:45], v[2:3], -v[18:19]
	s_delay_alu instid0(VALU_DEP_2) | instskip(NEXT) | instid1(VALU_DEP_2)
	v_mul_f64 v[0:1], v[0:1], s[0:1]
	v_mul_f64 v[2:3], v[2:3], s[0:1]
	s_waitcnt vmcnt(0) lgkmcnt(4)
	v_mul_f64 v[20:21], v[48:49], v[6:7]
	v_mul_f64 v[22:23], v[48:49], v[4:5]
	scratch_load_b128 v[48:51], off, off offset:32 ; 16-byte Folded Reload
	v_fma_f64 v[4:5], v[46:47], v[4:5], v[20:21]
	v_fma_f64 v[6:7], v[46:47], v[6:7], -v[22:23]
	s_delay_alu instid0(VALU_DEP_2) | instskip(NEXT) | instid1(VALU_DEP_2)
	v_mul_f64 v[4:5], v[4:5], s[0:1]
	v_mul_f64 v[6:7], v[6:7], s[0:1]
	;; [unrolled: 9-line block ×3, first 2 shown]
	s_waitcnt vmcnt(0) lgkmcnt(2)
	v_mul_f64 v[28:29], v[52:53], v[14:15]
	v_mul_f64 v[30:31], v[52:53], v[12:13]
	scratch_load_b128 v[52:55], off, off offset:96 ; 16-byte Folded Reload
	ds_load_b128 v[72:75], v255 offset:1632
	ds_load_b128 v[76:79], v255 offset:1904
	;; [unrolled: 1-line block ×10, first 2 shown]
	scratch_load_b128 v[112:115], off, off offset:48 ; 16-byte Folded Reload
	v_fma_f64 v[12:13], v[50:51], v[12:13], v[28:29]
	v_fma_f64 v[14:15], v[50:51], v[14:15], -v[30:31]
	s_delay_alu instid0(VALU_DEP_2) | instskip(NEXT) | instid1(VALU_DEP_2)
	v_mul_f64 v[12:13], v[12:13], s[0:1]
	v_mul_f64 v[14:15], v[14:15], s[0:1]
	s_waitcnt vmcnt(1) lgkmcnt(11)
	v_mul_f64 v[32:33], v[54:55], v[66:67]
	v_mul_f64 v[34:35], v[54:55], v[64:65]
	s_waitcnt vmcnt(0) lgkmcnt(10)
	v_mul_f64 v[42:43], v[114:115], v[70:71]
	v_mul_f64 v[20:21], v[114:115], v[68:69]
	scratch_load_b128 v[114:117], off, off offset:80 ; 16-byte Folded Reload
	v_fma_f64 v[16:17], v[52:53], v[64:65], v[32:33]
	v_fma_f64 v[18:19], v[52:53], v[66:67], -v[34:35]
	v_fma_f64 v[42:43], v[112:113], v[68:69], v[42:43]
	v_fma_f64 v[20:21], v[112:113], v[70:71], -v[20:21]
	v_add_co_u32 v66, vcc_lo, v36, s4
	v_add_co_ci_u32_e32 v67, vcc_lo, s8, v37, vcc_lo
	s_delay_alu instid0(VALU_DEP_2) | instskip(NEXT) | instid1(VALU_DEP_2)
	v_add_co_u32 v68, vcc_lo, v66, s4
	v_add_co_ci_u32_e32 v69, vcc_lo, s8, v67, vcc_lo
	s_delay_alu instid0(VALU_DEP_2) | instskip(NEXT) | instid1(VALU_DEP_2)
	v_add_co_u32 v70, vcc_lo, v68, s4
	v_add_co_ci_u32_e32 v71, vcc_lo, s8, v69, vcc_lo
	v_mul_f64 v[16:17], v[16:17], s[0:1]
	v_mul_f64 v[18:19], v[18:19], s[0:1]
	s_waitcnt vmcnt(0) lgkmcnt(9)
	v_mul_f64 v[22:23], v[116:117], v[74:75]
	v_mul_f64 v[24:25], v[116:117], v[72:73]
	scratch_load_b128 v[116:119], off, off offset:112 ; 16-byte Folded Reload
	v_fma_f64 v[22:23], v[114:115], v[72:73], v[22:23]
	v_fma_f64 v[24:25], v[114:115], v[74:75], -v[24:25]
	v_add_co_u32 v72, vcc_lo, v70, s4
	v_add_co_ci_u32_e32 v73, vcc_lo, s8, v71, vcc_lo
	s_waitcnt vmcnt(0) lgkmcnt(8)
	v_mul_f64 v[26:27], v[118:119], v[78:79]
	v_mul_f64 v[28:29], v[118:119], v[76:77]
	scratch_load_b128 v[118:121], off, off offset:128 ; 16-byte Folded Reload
	v_fma_f64 v[26:27], v[116:117], v[76:77], v[26:27]
	v_fma_f64 v[28:29], v[116:117], v[78:79], -v[28:29]
	s_waitcnt vmcnt(0) lgkmcnt(7)
	v_mul_f64 v[30:31], v[120:121], v[82:83]
	v_mul_f64 v[32:33], v[120:121], v[80:81]
	scratch_load_b128 v[120:123], off, off offset:144 ; 16-byte Folded Reload
	v_fma_f64 v[30:31], v[118:119], v[80:81], v[30:31]
	v_fma_f64 v[32:33], v[118:119], v[82:83], -v[32:33]
	;; [unrolled: 6-line block ×5, first 2 shown]
	s_waitcnt vmcnt(0) lgkmcnt(3)
	v_mul_f64 v[54:55], v[128:129], v[98:99]
	v_mul_f64 v[56:57], v[128:129], v[96:97]
	scratch_load_b128 v[128:131], off, off offset:208 ; 16-byte Folded Reload
	v_fma_f64 v[54:55], v[126:127], v[96:97], v[54:55]
	s_waitcnt vmcnt(0) lgkmcnt(2)
	v_mul_f64 v[58:59], v[130:131], v[102:103]
	v_mul_f64 v[60:61], v[130:131], v[100:101]
	scratch_load_b128 v[130:133], off, off offset:224 ; 16-byte Folded Reload
	s_waitcnt vmcnt(0) lgkmcnt(1)
	v_mul_f64 v[40:41], v[132:133], v[106:107]
	v_mul_f64 v[62:63], v[132:133], v[104:105]
	scratch_load_b128 v[132:135], off, off offset:240 ; 16-byte Folded Reload
	s_clause 0x4
	global_store_b128 v[36:37], v[0:3], off
	global_store_b128 v[66:67], v[4:7], off
	;; [unrolled: 1-line block ×5, first 2 shown]
	v_fma_f64 v[36:37], v[126:127], v[98:99], -v[56:57]
	v_fma_f64 v[56:57], v[128:129], v[100:101], v[58:59]
	v_fma_f64 v[58:59], v[128:129], v[102:103], -v[60:61]
	v_mul_f64 v[0:1], v[42:43], s[0:1]
	v_mul_f64 v[2:3], v[20:21], s[0:1]
	;; [unrolled: 1-line block ×4, first 2 shown]
	v_add_co_u32 v66, vcc_lo, v72, s4
	v_add_co_ci_u32_e32 v67, vcc_lo, s8, v73, vcc_lo
	v_mul_f64 v[8:9], v[26:27], s[0:1]
	s_delay_alu instid0(VALU_DEP_3) | instskip(NEXT) | instid1(VALU_DEP_3)
	v_add_co_u32 v68, vcc_lo, v66, s4
	v_add_co_ci_u32_e32 v69, vcc_lo, s8, v67, vcc_lo
	v_mul_f64 v[10:11], v[28:29], s[0:1]
	s_delay_alu instid0(VALU_DEP_3) | instskip(NEXT) | instid1(VALU_DEP_3)
	v_add_co_u32 v70, vcc_lo, v68, s4
	v_add_co_ci_u32_e32 v71, vcc_lo, s8, v69, vcc_lo
	v_mul_f64 v[12:13], v[30:31], s[0:1]
	v_mul_f64 v[14:15], v[32:33], s[0:1]
	;; [unrolled: 1-line block ×6, first 2 shown]
	v_add_co_u32 v44, vcc_lo, v70, s4
	v_mul_f64 v[24:25], v[50:51], s[0:1]
	v_mul_f64 v[26:27], v[52:53], s[0:1]
	;; [unrolled: 1-line block ×3, first 2 shown]
	v_add_co_ci_u32_e32 v45, vcc_lo, s8, v71, vcc_lo
	v_fma_f64 v[40:41], v[130:131], v[104:105], v[40:41]
	v_fma_f64 v[60:61], v[130:131], v[106:107], -v[62:63]
	v_add_co_u32 v46, vcc_lo, v44, s4
	v_mul_f64 v[30:31], v[36:37], s[0:1]
	v_mul_f64 v[32:33], v[56:57], s[0:1]
	;; [unrolled: 1-line block ×3, first 2 shown]
	v_add_co_ci_u32_e32 v47, vcc_lo, s8, v45, vcc_lo
	global_store_b128 v[66:67], v[0:3], off
	v_add_co_u32 v0, vcc_lo, v46, s4
	v_add_co_ci_u32_e32 v1, vcc_lo, s8, v47, vcc_lo
	global_store_b128 v[68:69], v[4:7], off
	v_add_co_u32 v2, vcc_lo, v0, s4
	v_add_co_ci_u32_e32 v3, vcc_lo, s8, v1, vcc_lo
	s_delay_alu instid0(VALU_DEP_2) | instskip(NEXT) | instid1(VALU_DEP_2)
	v_add_co_u32 v4, vcc_lo, v2, s4
	v_add_co_ci_u32_e32 v5, vcc_lo, s8, v3, vcc_lo
	global_store_b128 v[70:71], v[8:11], off
	v_add_co_u32 v6, vcc_lo, v4, s4
	v_add_co_ci_u32_e32 v7, vcc_lo, s8, v5, vcc_lo
	global_store_b128 v[44:45], v[12:15], off
	;; [unrolled: 3-line block ×3, first 2 shown]
	global_store_b128 v[0:1], v[20:23], off
	v_add_co_u32 v0, vcc_lo, v8, s4
	v_mul_f64 v[36:37], v[40:41], s[0:1]
	v_add_co_ci_u32_e32 v1, vcc_lo, s8, v9, vcc_lo
	s_waitcnt vmcnt(0) lgkmcnt(0)
	v_mul_f64 v[64:65], v[134:135], v[110:111]
	v_mul_f64 v[38:39], v[134:135], v[108:109]
	s_delay_alu instid0(VALU_DEP_2) | instskip(NEXT) | instid1(VALU_DEP_2)
	v_fma_f64 v[62:63], v[132:133], v[108:109], v[64:65]
	v_fma_f64 v[64:65], v[132:133], v[110:111], -v[38:39]
	v_mul_f64 v[38:39], v[60:61], s[0:1]
	s_delay_alu instid0(VALU_DEP_3) | instskip(NEXT) | instid1(VALU_DEP_3)
	v_mul_f64 v[40:41], v[62:63], s[0:1]
	v_mul_f64 v[42:43], v[64:65], s[0:1]
	global_store_b128 v[2:3], v[24:27], off
	global_store_b128 v[4:5], v[28:31], off
	;; [unrolled: 1-line block ×5, first 2 shown]
.LBB0_10:
	s_nop 0
	s_sendmsg sendmsg(MSG_DEALLOC_VGPRS)
	s_endpgm
	.section	.rodata,"a",@progbits
	.p2align	6, 0x0
	.amdhsa_kernel bluestein_single_back_len272_dim1_dp_op_CI_CI
		.amdhsa_group_segment_fixed_size 30464
		.amdhsa_private_segment_fixed_size 484
		.amdhsa_kernarg_size 104
		.amdhsa_user_sgpr_count 15
		.amdhsa_user_sgpr_dispatch_ptr 0
		.amdhsa_user_sgpr_queue_ptr 0
		.amdhsa_user_sgpr_kernarg_segment_ptr 1
		.amdhsa_user_sgpr_dispatch_id 0
		.amdhsa_user_sgpr_private_segment_size 0
		.amdhsa_wavefront_size32 1
		.amdhsa_uses_dynamic_stack 0
		.amdhsa_enable_private_segment 1
		.amdhsa_system_sgpr_workgroup_id_x 1
		.amdhsa_system_sgpr_workgroup_id_y 0
		.amdhsa_system_sgpr_workgroup_id_z 0
		.amdhsa_system_sgpr_workgroup_info 0
		.amdhsa_system_vgpr_workitem_id 0
		.amdhsa_next_free_vgpr 256
		.amdhsa_next_free_sgpr 58
		.amdhsa_reserve_vcc 1
		.amdhsa_float_round_mode_32 0
		.amdhsa_float_round_mode_16_64 0
		.amdhsa_float_denorm_mode_32 3
		.amdhsa_float_denorm_mode_16_64 3
		.amdhsa_dx10_clamp 1
		.amdhsa_ieee_mode 1
		.amdhsa_fp16_overflow 0
		.amdhsa_workgroup_processor_mode 1
		.amdhsa_memory_ordered 1
		.amdhsa_forward_progress 0
		.amdhsa_shared_vgpr_count 0
		.amdhsa_exception_fp_ieee_invalid_op 0
		.amdhsa_exception_fp_denorm_src 0
		.amdhsa_exception_fp_ieee_div_zero 0
		.amdhsa_exception_fp_ieee_overflow 0
		.amdhsa_exception_fp_ieee_underflow 0
		.amdhsa_exception_fp_ieee_inexact 0
		.amdhsa_exception_int_div_zero 0
	.end_amdhsa_kernel
	.text
.Lfunc_end0:
	.size	bluestein_single_back_len272_dim1_dp_op_CI_CI, .Lfunc_end0-bluestein_single_back_len272_dim1_dp_op_CI_CI
                                        ; -- End function
	.section	.AMDGPU.csdata,"",@progbits
; Kernel info:
; codeLenInByte = 22676
; NumSgprs: 60
; NumVgprs: 256
; ScratchSize: 484
; MemoryBound: 0
; FloatMode: 240
; IeeeMode: 1
; LDSByteSize: 30464 bytes/workgroup (compile time only)
; SGPRBlocks: 7
; VGPRBlocks: 31
; NumSGPRsForWavesPerEU: 60
; NumVGPRsForWavesPerEU: 256
; Occupancy: 4
; WaveLimiterHint : 1
; COMPUTE_PGM_RSRC2:SCRATCH_EN: 1
; COMPUTE_PGM_RSRC2:USER_SGPR: 15
; COMPUTE_PGM_RSRC2:TRAP_HANDLER: 0
; COMPUTE_PGM_RSRC2:TGID_X_EN: 1
; COMPUTE_PGM_RSRC2:TGID_Y_EN: 0
; COMPUTE_PGM_RSRC2:TGID_Z_EN: 0
; COMPUTE_PGM_RSRC2:TIDIG_COMP_CNT: 0
	.text
	.p2alignl 7, 3214868480
	.fill 96, 4, 3214868480
	.type	__hip_cuid_5df2988b94f33846,@object ; @__hip_cuid_5df2988b94f33846
	.section	.bss,"aw",@nobits
	.globl	__hip_cuid_5df2988b94f33846
__hip_cuid_5df2988b94f33846:
	.byte	0                               ; 0x0
	.size	__hip_cuid_5df2988b94f33846, 1

	.ident	"AMD clang version 19.0.0git (https://github.com/RadeonOpenCompute/llvm-project roc-6.4.0 25133 c7fe45cf4b819c5991fe208aaa96edf142730f1d)"
	.section	".note.GNU-stack","",@progbits
	.addrsig
	.addrsig_sym __hip_cuid_5df2988b94f33846
	.amdgpu_metadata
---
amdhsa.kernels:
  - .args:
      - .actual_access:  read_only
        .address_space:  global
        .offset:         0
        .size:           8
        .value_kind:     global_buffer
      - .actual_access:  read_only
        .address_space:  global
        .offset:         8
        .size:           8
        .value_kind:     global_buffer
      - .actual_access:  read_only
        .address_space:  global
        .offset:         16
        .size:           8
        .value_kind:     global_buffer
      - .actual_access:  read_only
        .address_space:  global
        .offset:         24
        .size:           8
        .value_kind:     global_buffer
      - .actual_access:  read_only
        .address_space:  global
        .offset:         32
        .size:           8
        .value_kind:     global_buffer
      - .offset:         40
        .size:           8
        .value_kind:     by_value
      - .address_space:  global
        .offset:         48
        .size:           8
        .value_kind:     global_buffer
      - .address_space:  global
        .offset:         56
        .size:           8
        .value_kind:     global_buffer
      - .address_space:  global
        .offset:         64
        .size:           8
        .value_kind:     global_buffer
      - .address_space:  global
        .offset:         72
        .size:           8
        .value_kind:     global_buffer
      - .offset:         80
        .size:           4
        .value_kind:     by_value
      - .address_space:  global
        .offset:         88
        .size:           8
        .value_kind:     global_buffer
      - .address_space:  global
        .offset:         96
        .size:           8
        .value_kind:     global_buffer
    .group_segment_fixed_size: 30464
    .kernarg_segment_align: 8
    .kernarg_segment_size: 104
    .language:       OpenCL C
    .language_version:
      - 2
      - 0
    .max_flat_workgroup_size: 119
    .name:           bluestein_single_back_len272_dim1_dp_op_CI_CI
    .private_segment_fixed_size: 484
    .sgpr_count:     60
    .sgpr_spill_count: 0
    .symbol:         bluestein_single_back_len272_dim1_dp_op_CI_CI.kd
    .uniform_work_group_size: 1
    .uses_dynamic_stack: false
    .vgpr_count:     256
    .vgpr_spill_count: 120
    .wavefront_size: 32
    .workgroup_processor_mode: 1
amdhsa.target:   amdgcn-amd-amdhsa--gfx1100
amdhsa.version:
  - 1
  - 2
...

	.end_amdgpu_metadata
